;; amdgpu-corpus repo=ROCm/rocFFT kind=compiled arch=gfx1201 opt=O3
	.text
	.amdgcn_target "amdgcn-amd-amdhsa--gfx1201"
	.amdhsa_code_object_version 6
	.protected	bluestein_single_back_len1430_dim1_dp_op_CI_CI ; -- Begin function bluestein_single_back_len1430_dim1_dp_op_CI_CI
	.globl	bluestein_single_back_len1430_dim1_dp_op_CI_CI
	.p2align	8
	.type	bluestein_single_back_len1430_dim1_dp_op_CI_CI,@function
bluestein_single_back_len1430_dim1_dp_op_CI_CI: ; @bluestein_single_back_len1430_dim1_dp_op_CI_CI
; %bb.0:
	s_load_b128 s[8:11], s[0:1], 0x28
	v_mul_u32_u24_e32 v1, 0x1cb, v0
	s_mov_b32 s2, exec_lo
	v_mov_b32_e32 v129, 0
	s_delay_alu instid0(VALU_DEP_2) | instskip(NEXT) | instid1(VALU_DEP_1)
	v_lshrrev_b32_e32 v1, 16, v1
	v_add_nc_u32_e32 v128, ttmp9, v1
	s_wait_kmcnt 0x0
	s_delay_alu instid0(VALU_DEP_1)
	v_cmpx_gt_u64_e64 s[8:9], v[128:129]
	s_cbranch_execz .LBB0_23
; %bb.1:
	s_clause 0x1
	s_load_b64 s[8:9], s[0:1], 0x0
	s_load_b64 s[12:13], s[0:1], 0x38
	v_mul_lo_u16 v1, 0x8f, v1
	s_delay_alu instid0(VALU_DEP_1) | instskip(NEXT) | instid1(VALU_DEP_1)
	v_sub_nc_u16 v0, v0, v1
	v_and_b32_e32 v202, 0xffff, v0
	v_cmp_gt_u16_e32 vcc_lo, 0x6e, v0
	s_delay_alu instid0(VALU_DEP_2)
	v_lshlrev_b32_e32 v201, 4, v202
	s_and_saveexec_b32 s3, vcc_lo
	s_cbranch_execz .LBB0_3
; %bb.2:
	s_load_b64 s[4:5], s[0:1], 0x18
	s_wait_kmcnt 0x0
	s_load_b128 s[4:7], s[4:5], 0x0
	s_wait_kmcnt 0x0
	v_mad_co_u64_u32 v[16:17], null, s4, v202, 0
	v_mad_co_u64_u32 v[0:1], null, s6, v128, 0
	s_delay_alu instid0(VALU_DEP_2) | instskip(NEXT) | instid1(VALU_DEP_1)
	v_mov_b32_e32 v2, v17
	v_mad_co_u64_u32 v[3:4], null, s7, v128, v[1:2]
	s_delay_alu instid0(VALU_DEP_1) | instskip(SKIP_2) | instid1(VALU_DEP_2)
	v_mov_b32_e32 v1, v3
	v_mad_co_u64_u32 v[4:5], null, s5, v202, v[2:3]
	s_mul_u64 s[4:5], s[4:5], 0x6e0
	v_lshlrev_b64_e32 v[18:19], 4, v[0:1]
	s_delay_alu instid0(VALU_DEP_2)
	v_mov_b32_e32 v17, v4
	s_clause 0x3
	global_load_b128 v[0:3], v201, s[8:9]
	global_load_b128 v[4:7], v201, s[8:9] offset:1760
	global_load_b128 v[8:11], v201, s[8:9] offset:3520
	;; [unrolled: 1-line block ×3, first 2 shown]
	v_add_co_u32 v26, s2, s10, v18
	s_delay_alu instid0(VALU_DEP_1)
	v_add_co_ci_u32_e64 v27, s2, s11, v19, s2
	v_lshlrev_b64_e32 v[24:25], 4, v[16:17]
	s_clause 0x1
	global_load_b128 v[16:19], v201, s[8:9] offset:7040
	global_load_b128 v[20:23], v201, s[8:9] offset:8800
	v_add_co_u32 v40, s2, v26, v24
	s_wait_alu 0xf1ff
	v_add_co_ci_u32_e64 v41, s2, v27, v25, s2
	s_clause 0x1
	global_load_b128 v[24:27], v201, s[8:9] offset:10560
	global_load_b128 v[28:31], v201, s[8:9] offset:12320
	s_wait_alu 0xfffe
	v_add_co_u32 v44, s2, v40, s4
	s_wait_alu 0xf1ff
	v_add_co_ci_u32_e64 v45, s2, s5, v41, s2
	s_clause 0x1
	global_load_b128 v[32:35], v201, s[8:9] offset:14080
	global_load_b128 v[36:39], v201, s[8:9] offset:15840
	v_add_co_u32 v48, s2, v44, s4
	s_wait_alu 0xf1ff
	v_add_co_ci_u32_e64 v49, s2, s5, v45, s2
	s_clause 0x1
	global_load_b128 v[40:43], v[40:41], off
	global_load_b128 v[44:47], v[44:45], off
	v_add_co_u32 v52, s2, v48, s4
	s_wait_alu 0xf1ff
	v_add_co_ci_u32_e64 v53, s2, s5, v49, s2
	s_delay_alu instid0(VALU_DEP_2) | instskip(SKIP_1) | instid1(VALU_DEP_2)
	v_add_co_u32 v56, s2, v52, s4
	s_wait_alu 0xf1ff
	v_add_co_ci_u32_e64 v57, s2, s5, v53, s2
	s_clause 0x1
	global_load_b128 v[48:51], v[48:49], off
	global_load_b128 v[52:55], v[52:53], off
	v_add_co_u32 v60, s2, v56, s4
	s_wait_alu 0xf1ff
	v_add_co_ci_u32_e64 v61, s2, s5, v57, s2
	global_load_b128 v[56:59], v[56:57], off
	v_add_co_u32 v64, s2, v60, s4
	s_wait_alu 0xf1ff
	v_add_co_ci_u32_e64 v65, s2, s5, v61, s2
	global_load_b128 v[60:63], v[60:61], off
	v_add_co_u32 v68, s2, v64, s4
	s_wait_alu 0xf1ff
	v_add_co_ci_u32_e64 v69, s2, s5, v65, s2
	global_load_b128 v[64:67], v[64:65], off
	v_add_co_u32 v72, s2, v68, s4
	s_wait_alu 0xf1ff
	v_add_co_ci_u32_e64 v73, s2, s5, v69, s2
	global_load_b128 v[68:71], v[68:69], off
	v_add_co_u32 v76, s2, v72, s4
	s_wait_alu 0xf1ff
	v_add_co_ci_u32_e64 v77, s2, s5, v73, s2
	global_load_b128 v[72:75], v[72:73], off
	v_add_co_u32 v80, s2, v76, s4
	s_wait_alu 0xf1ff
	v_add_co_ci_u32_e64 v81, s2, s5, v77, s2
	global_load_b128 v[76:79], v[76:77], off
	v_add_co_u32 v92, s2, v80, s4
	s_wait_alu 0xf1ff
	v_add_co_ci_u32_e64 v93, s2, s5, v81, s2
	global_load_b128 v[80:83], v[80:81], off
	v_add_co_u32 v100, s2, v92, s4
	s_wait_alu 0xf1ff
	v_add_co_ci_u32_e64 v101, s2, s5, v93, s2
	s_clause 0x1
	global_load_b128 v[84:87], v201, s[8:9] offset:17600
	global_load_b128 v[88:91], v201, s[8:9] offset:19360
	global_load_b128 v[92:95], v[92:93], off
	global_load_b128 v[96:99], v201, s[8:9] offset:21120
	global_load_b128 v[100:103], v[100:101], off
	s_wait_loadcnt 0xf
	v_mul_f64_e32 v[104:105], v[42:43], v[2:3]
	v_mul_f64_e32 v[2:3], v[40:41], v[2:3]
	s_wait_loadcnt 0xe
	v_mul_f64_e32 v[106:107], v[46:47], v[6:7]
	v_mul_f64_e32 v[6:7], v[44:45], v[6:7]
	;; [unrolled: 3-line block ×10, first 2 shown]
	v_fma_f64 v[38:39], v[40:41], v[0:1], v[104:105]
	v_fma_f64 v[40:41], v[42:43], v[0:1], -v[2:3]
	v_fma_f64 v[0:1], v[44:45], v[4:5], v[106:107]
	v_fma_f64 v[2:3], v[46:47], v[4:5], -v[6:7]
	s_wait_loadcnt 0x4
	v_mul_f64_e32 v[126:127], v[82:83], v[86:87]
	v_mul_f64_e32 v[86:87], v[80:81], v[86:87]
	s_wait_loadcnt 0x2
	v_mul_f64_e32 v[129:130], v[94:95], v[90:91]
	v_mul_f64_e32 v[90:91], v[92:93], v[90:91]
	;; [unrolled: 3-line block ×3, first 2 shown]
	v_fma_f64 v[4:5], v[48:49], v[8:9], v[108:109]
	v_fma_f64 v[6:7], v[50:51], v[8:9], -v[10:11]
	v_fma_f64 v[8:9], v[52:53], v[12:13], v[110:111]
	v_fma_f64 v[10:11], v[54:55], v[12:13], -v[14:15]
	;; [unrolled: 2-line block ×11, first 2 shown]
	ds_store_b128 v201, v[38:41]
	ds_store_b128 v201, v[0:3] offset:1760
	ds_store_b128 v201, v[4:7] offset:3520
	;; [unrolled: 1-line block ×12, first 2 shown]
.LBB0_3:
	s_or_b32 exec_lo, exec_lo, s3
	global_wb scope:SCOPE_SE
	s_wait_dscnt 0x0
	s_wait_kmcnt 0x0
	s_barrier_signal -1
	s_barrier_wait -1
	global_inv scope:SCOPE_SE
                                        ; implicit-def: $vgpr8_vgpr9
                                        ; implicit-def: $vgpr48_vgpr49
                                        ; implicit-def: $vgpr44_vgpr45
                                        ; implicit-def: $vgpr40_vgpr41
                                        ; implicit-def: $vgpr36_vgpr37
                                        ; implicit-def: $vgpr32_vgpr33
                                        ; implicit-def: $vgpr28_vgpr29
                                        ; implicit-def: $vgpr24_vgpr25
                                        ; implicit-def: $vgpr20_vgpr21
                                        ; implicit-def: $vgpr16_vgpr17
                                        ; implicit-def: $vgpr12_vgpr13
                                        ; implicit-def: $vgpr4_vgpr5
                                        ; implicit-def: $vgpr0_vgpr1
	s_and_saveexec_b32 s2, vcc_lo
	s_cbranch_execz .LBB0_5
; %bb.4:
	ds_load_b128 v[8:11], v201
	ds_load_b128 v[48:51], v201 offset:1760
	ds_load_b128 v[44:47], v201 offset:3520
	;; [unrolled: 1-line block ×12, first 2 shown]
.LBB0_5:
	s_wait_alu 0xfffe
	s_or_b32 exec_lo, exec_lo, s2
	s_wait_dscnt 0xb
	v_add_f64_e32 v[56:57], v[8:9], v[48:49]
	v_add_f64_e32 v[58:59], v[10:11], v[50:51]
	s_wait_dscnt 0x0
	v_add_f64_e64 v[60:61], v[48:49], -v[0:1]
	v_add_f64_e64 v[62:63], v[50:51], -v[2:3]
	v_add_f64_e32 v[74:75], v[36:37], v[16:17]
	v_add_f64_e32 v[76:77], v[38:39], v[18:19]
	v_add_f64_e64 v[78:79], v[36:37], -v[16:17]
	v_add_f64_e64 v[80:81], v[38:39], -v[18:19]
	s_mov_b32 s28, 0x42a4c3d2
	s_mov_b32 s34, 0x66966769
	s_mov_b32 s18, 0x2ef20147
	s_mov_b32 s22, 0x24c2f84
	s_mov_b32 s24, 0x4bc48dbf
	s_mov_b32 s15, 0xbfddbe06
	s_mov_b32 s14, 0x4267c47c
	s_mov_b32 s29, 0xbfea55e2
	s_mov_b32 s35, 0xbfefc445
	s_mov_b32 s19, 0xbfedeba7
	s_mov_b32 s23, 0xbfe5384d
	s_mov_b32 s25, 0xbfcea1e5
	v_add_f64_e32 v[52:53], v[48:49], v[0:1]
	v_add_f64_e32 v[54:55], v[50:51], v[2:3]
	;; [unrolled: 1-line block ×3, first 2 shown]
	v_add_f64_e64 v[66:67], v[44:45], -v[4:5]
	v_add_f64_e64 v[68:69], v[46:47], -v[6:7]
	v_add_f64_e32 v[82:83], v[32:33], v[20:21]
	v_add_f64_e64 v[84:85], v[32:33], -v[20:21]
	v_add_f64_e64 v[86:87], v[34:35], -v[22:23]
	s_mov_b32 s2, 0xe00740e9
	s_mov_b32 s4, 0x1ea71119
	;; [unrolled: 1-line block ×10, first 2 shown]
	v_add_f64_e32 v[64:65], v[56:57], v[44:45]
	v_add_f64_e32 v[58:59], v[58:59], v[46:47]
	;; [unrolled: 1-line block ×3, first 2 shown]
	v_mul_f64_e32 v[92:93], s[14:15], v[62:63]
	v_mul_f64_e32 v[94:95], s[14:15], v[60:61]
	;; [unrolled: 1-line block ×12, first 2 shown]
	s_mov_b32 s17, 0xbfe7f3cc
	s_mov_b32 s21, 0xbfef11f4
	s_mov_b32 s37, 0x3fe5384d
	s_mov_b32 s27, 0x3fefc445
	s_mov_b32 s36, s22
	s_mov_b32 s26, s34
	s_mov_b32 s15, 0x3fddbe06
	v_add_f64_e32 v[48:49], v[46:47], v[6:7]
	v_add_f64_e32 v[56:57], v[40:41], v[12:13]
	;; [unrolled: 1-line block ×3, first 2 shown]
	v_add_f64_e64 v[70:71], v[40:41], -v[12:13]
	v_add_f64_e64 v[72:73], v[42:43], -v[14:15]
	;; [unrolled: 1-line block ×4, first 2 shown]
	v_mul_f64_e32 v[112:113], s[28:29], v[68:69]
	v_mul_f64_e32 v[114:115], s[28:29], v[66:67]
	;; [unrolled: 1-line block ×9, first 2 shown]
	v_add_f64_e32 v[64:65], v[64:65], v[40:41]
	v_add_f64_e32 v[58:59], v[58:59], v[42:43]
	;; [unrolled: 1-line block ×4, first 2 shown]
	v_mul_f64_e32 v[131:132], s[26:27], v[66:67]
	s_wait_alu 0xfffe
	v_mul_f64_e32 v[68:69], s[14:15], v[68:69]
	v_mul_f64_e32 v[66:67], s[14:15], v[66:67]
	v_fma_f64 v[191:192], v[52:53], s[4:5], -v[96:97]
	v_fma_f64 v[193:194], v[54:55], s[4:5], v[98:99]
	v_fma_f64 v[96:97], v[52:53], s[4:5], v[96:97]
	v_fma_f64 v[98:99], v[54:55], s[4:5], -v[98:99]
	v_fma_f64 v[195:196], v[52:53], s[6:7], -v[100:101]
	v_fma_f64 v[197:198], v[54:55], s[6:7], v[102:103]
	v_fma_f64 v[100:101], v[52:53], s[6:7], v[100:101]
	v_fma_f64 v[102:103], v[54:55], s[6:7], -v[102:103]
	;; [unrolled: 4-line block ×4, first 2 shown]
	v_fma_f64 v[209:210], v[52:53], s[20:21], -v[62:63]
	v_fma_f64 v[211:212], v[54:55], s[20:21], v[60:61]
	s_mov_b32 s41, 0x3fedeba7
	s_mov_b32 s40, s18
	v_mul_f64_e32 v[133:134], s[34:35], v[72:73]
	v_mul_f64_e32 v[135:136], s[34:35], v[70:71]
	;; [unrolled: 1-line block ×8, first 2 shown]
	v_fma_f64 v[213:214], v[50:51], s[10:11], -v[116:117]
	v_fma_f64 v[215:216], v[48:49], s[10:11], v[118:119]
	v_fma_f64 v[116:117], v[50:51], s[10:11], v[116:117]
	v_add_f64_e32 v[36:37], v[64:65], v[36:37]
	v_add_f64_e32 v[38:39], v[58:59], v[38:39]
	v_mul_f64_e32 v[58:59], s[24:25], v[70:71]
	v_mul_f64_e32 v[64:65], s[40:41], v[72:73]
	;; [unrolled: 1-line block ×4, first 2 shown]
	v_fma_f64 v[118:119], v[48:49], s[10:11], -v[118:119]
	v_fma_f64 v[217:218], v[50:51], s[20:21], -v[120:121]
	v_fma_f64 v[219:220], v[48:49], s[20:21], v[122:123]
	v_fma_f64 v[120:121], v[50:51], s[20:21], v[120:121]
	v_fma_f64 v[122:123], v[48:49], s[20:21], -v[122:123]
	v_fma_f64 v[221:222], v[50:51], s[6:7], -v[129:130]
	v_fma_f64 v[223:224], v[48:49], s[6:7], v[131:132]
	v_fma_f64 v[129:130], v[50:51], s[6:7], v[129:130]
	v_fma_f64 v[131:132], v[48:49], s[6:7], -v[131:132]
	v_add_f64_e32 v[191:192], v[8:9], v[191:192]
	v_add_f64_e32 v[193:194], v[10:11], v[193:194]
	;; [unrolled: 1-line block ×18, first 2 shown]
	s_mov_b32 s39, 0x3fcea1e5
	s_mov_b32 s31, 0x3fea55e2
	;; [unrolled: 1-line block ×4, first 2 shown]
	v_mul_f64_e32 v[149:150], s[18:19], v[80:81]
	v_add_f64_e32 v[32:33], v[36:37], v[32:33]
	v_add_f64_e32 v[34:35], v[38:39], v[34:35]
	v_fma_f64 v[36:37], v[52:53], s[2:3], -v[92:93]
	v_fma_f64 v[38:39], v[54:55], s[2:3], v[94:95]
	v_fma_f64 v[92:93], v[52:53], s[2:3], v[92:93]
	v_fma_f64 v[94:95], v[54:55], s[2:3], -v[94:95]
	v_fma_f64 v[52:53], v[52:53], s[20:21], v[62:63]
	v_fma_f64 v[54:55], v[54:55], s[20:21], -v[60:61]
	v_fma_f64 v[60:61], v[50:51], s[4:5], -v[112:113]
	v_fma_f64 v[62:63], v[48:49], s[4:5], v[114:115]
	v_fma_f64 v[112:113], v[50:51], s[4:5], v[112:113]
	v_fma_f64 v[114:115], v[48:49], s[4:5], -v[114:115]
	v_mul_f64_e32 v[151:152], s[18:19], v[78:79]
	v_mul_f64_e32 v[153:154], s[36:37], v[80:81]
	;; [unrolled: 1-line block ×12, first 2 shown]
	v_fma_f64 v[225:226], v[56:57], s[6:7], -v[133:134]
	v_fma_f64 v[227:228], v[46:47], s[6:7], v[135:136]
	v_fma_f64 v[133:134], v[56:57], s[6:7], v[133:134]
	v_fma_f64 v[135:136], v[46:47], s[6:7], -v[135:136]
	v_fma_f64 v[229:230], v[56:57], s[20:21], -v[137:138]
	v_fma_f64 v[231:232], v[46:47], s[20:21], v[58:59]
	v_fma_f64 v[137:138], v[56:57], s[20:21], v[137:138]
	v_fma_f64 v[58:59], v[46:47], s[20:21], -v[58:59]
	;; [unrolled: 4-line block ×3, first 2 shown]
	v_fma_f64 v[237:238], v[56:57], s[4:5], -v[141:142]
	v_fma_f64 v[239:240], v[46:47], s[4:5], v[143:144]
	v_add_f64_e32 v[28:29], v[32:33], v[28:29]
	v_add_f64_e32 v[30:31], v[34:35], v[30:31]
	v_fma_f64 v[32:33], v[50:51], s[16:17], -v[124:125]
	v_fma_f64 v[34:35], v[48:49], s[16:17], v[126:127]
	v_fma_f64 v[124:125], v[50:51], s[16:17], v[124:125]
	v_fma_f64 v[126:127], v[48:49], s[16:17], -v[126:127]
	v_add_f64_e32 v[36:37], v[8:9], v[36:37]
	v_add_f64_e32 v[38:39], v[10:11], v[38:39]
	;; [unrolled: 1-line block ×6, first 2 shown]
	v_fma_f64 v[54:55], v[50:51], s[2:3], -v[68:69]
	v_fma_f64 v[50:51], v[50:51], s[2:3], v[68:69]
	v_fma_f64 v[68:69], v[48:49], s[2:3], v[66:67]
	v_fma_f64 v[48:49], v[48:49], s[2:3], -v[66:67]
	v_fma_f64 v[141:142], v[56:57], s[4:5], v[141:142]
	v_fma_f64 v[143:144], v[46:47], s[4:5], -v[143:144]
	v_fma_f64 v[241:242], v[56:57], s[16:17], -v[145:146]
	v_fma_f64 v[243:244], v[46:47], s[16:17], v[147:148]
	v_fma_f64 v[145:146], v[56:57], s[16:17], v[145:146]
	v_fma_f64 v[147:148], v[46:47], s[16:17], -v[147:148]
	v_fma_f64 v[66:67], v[56:57], s[2:3], -v[72:73]
	v_fma_f64 v[56:57], v[56:57], s[2:3], v[72:73]
	v_fma_f64 v[72:73], v[46:47], s[2:3], v[70:71]
	v_fma_f64 v[46:47], v[46:47], s[2:3], -v[70:71]
	v_add_f64_e32 v[191:192], v[213:214], v[191:192]
	v_add_f64_e32 v[193:194], v[215:216], v[193:194]
	;; [unrolled: 1-line block ×10, first 2 shown]
	v_mul_f64_e32 v[169:170], s[22:23], v[86:87]
	v_mul_f64_e32 v[171:172], s[22:23], v[84:85]
	v_add_f64_e32 v[24:25], v[28:29], v[24:25]
	v_add_f64_e32 v[26:27], v[30:31], v[26:27]
	v_mul_f64_e32 v[175:176], s[26:27], v[84:85]
	v_mul_f64_e32 v[177:178], s[28:29], v[86:87]
	;; [unrolled: 1-line block ×4, first 2 shown]
	v_add_f64_e32 v[36:37], v[60:61], v[36:37]
	v_add_f64_e32 v[38:39], v[62:63], v[38:39]
	;; [unrolled: 1-line block ×4, first 2 shown]
	v_mul_f64_e32 v[183:184], s[38:39], v[84:85]
	v_mul_f64_e32 v[185:186], s[18:19], v[86:87]
	v_add_f64_e32 v[54:55], v[54:55], v[209:210]
	v_add_f64_e32 v[8:9], v[50:51], v[8:9]
	;; [unrolled: 1-line block ×4, first 2 shown]
	v_mul_f64_e32 v[187:188], s[18:19], v[84:85]
	v_mul_f64_e32 v[86:87], s[14:15], v[86:87]
	;; [unrolled: 1-line block ×3, first 2 shown]
	v_fma_f64 v[245:246], v[74:75], s[10:11], -v[149:150]
	v_fma_f64 v[247:248], v[76:77], s[10:11], v[151:152]
	v_fma_f64 v[149:150], v[74:75], s[10:11], v[149:150]
	v_fma_f64 v[151:152], v[76:77], s[10:11], -v[151:152]
	v_fma_f64 v[249:250], v[74:75], s[16:17], -v[153:154]
	v_fma_f64 v[251:252], v[76:77], s[16:17], v[155:156]
	v_fma_f64 v[153:154], v[74:75], s[16:17], v[153:154]
	v_fma_f64 v[155:156], v[76:77], s[16:17], -v[155:156]
	;; [unrolled: 4-line block ×4, first 2 shown]
	v_fma_f64 v[60:61], v[74:75], s[4:5], -v[165:166]
	v_fma_f64 v[62:63], v[76:77], s[4:5], v[167:168]
	v_fma_f64 v[165:166], v[74:75], s[4:5], v[165:166]
	v_add_f64_e32 v[20:21], v[24:25], v[20:21]
	v_add_f64_e32 v[22:23], v[26:27], v[22:23]
	;; [unrolled: 1-line block ×8, first 2 shown]
	v_fma_f64 v[167:168], v[76:77], s[4:5], -v[167:168]
	v_fma_f64 v[120:121], v[82:83], s[6:7], -v[173:174]
	v_fma_f64 v[124:125], v[82:83], s[6:7], v[173:174]
	v_fma_f64 v[173:174], v[74:75], s[2:3], -v[80:81]
	v_fma_f64 v[74:75], v[74:75], s[2:3], v[80:81]
	v_fma_f64 v[80:81], v[76:77], s[2:3], v[78:79]
	v_fma_f64 v[76:77], v[76:77], s[2:3], -v[78:79]
	v_add_f64_e32 v[36:37], v[225:226], v[36:37]
	v_add_f64_e32 v[38:39], v[227:228], v[38:39]
	;; [unrolled: 1-line block ×15, first 2 shown]
	v_mul_f64_e32 v[189:190], s[24:25], v[90:91]
	v_fma_f64 v[112:113], v[82:83], s[16:17], -v[169:170]
	v_fma_f64 v[114:115], v[44:45], s[16:17], v[171:172]
	v_fma_f64 v[169:170], v[82:83], s[16:17], v[169:170]
	v_fma_f64 v[50:51], v[44:45], s[16:17], -v[171:172]
	v_fma_f64 v[122:123], v[44:45], s[6:7], v[175:176]
	v_fma_f64 v[126:127], v[44:45], s[6:7], -v[175:176]
	v_fma_f64 v[129:130], v[82:83], s[4:5], -v[177:178]
	v_add_f64_e32 v[16:17], v[20:21], v[16:17]
	v_add_f64_e32 v[18:19], v[22:23], v[18:19]
	;; [unrolled: 1-line block ×11, first 2 shown]
	v_fma_f64 v[131:132], v[44:45], s[4:5], v[179:180]
	v_fma_f64 v[171:172], v[82:83], s[4:5], v[177:178]
	v_fma_f64 v[68:69], v[44:45], s[4:5], -v[179:180]
	v_fma_f64 v[72:73], v[82:83], s[20:21], -v[181:182]
	v_fma_f64 v[102:103], v[44:45], s[20:21], v[183:184]
	v_fma_f64 v[104:105], v[82:83], s[20:21], v[181:182]
	v_fma_f64 v[106:107], v[44:45], s[20:21], -v[183:184]
	v_fma_f64 v[108:109], v[82:83], s[10:11], -v[185:186]
	v_fma_f64 v[110:111], v[44:45], s[10:11], v[187:188]
	v_fma_f64 v[118:119], v[82:83], s[10:11], v[185:186]
	v_fma_f64 v[133:134], v[82:83], s[2:3], -v[86:87]
	v_fma_f64 v[135:136], v[44:45], s[2:3], v[84:85]
	v_fma_f64 v[82:83], v[82:83], s[2:3], v[86:87]
	v_fma_f64 v[84:85], v[44:45], s[2:3], -v[84:85]
	v_add_f64_e32 v[36:37], v[245:246], v[36:37]
	v_add_f64_e32 v[38:39], v[247:248], v[38:39]
	;; [unrolled: 1-line block ×25, first 2 shown]
	v_mul_f64_e32 v[46:47], s[24:25], v[88:89]
	v_mul_f64_e32 v[52:53], s[22:23], v[90:91]
	v_mul_f64_e32 v[54:55], s[22:23], v[88:89]
	v_mul_f64_e32 v[56:57], s[30:31], v[90:91]
	v_mul_f64_e32 v[60:61], s[14:15], v[90:91]
	v_mul_f64_e32 v[62:63], s[14:15], v[88:89]
	v_mul_f64_e32 v[66:67], s[30:31], v[88:89]
	v_mul_f64_e32 v[70:71], s[18:19], v[90:91]
	v_mul_f64_e32 v[76:77], s[18:19], v[88:89]
	v_mul_f64_e32 v[90:91], s[26:27], v[90:91]
	v_mul_f64_e32 v[88:89], s[26:27], v[88:89]
	v_fma_f64 v[44:45], v[44:45], s[10:11], -v[187:188]
	v_add_f64_e32 v[10:11], v[167:168], v[10:11]
	v_add_f64_e32 v[36:37], v[112:113], v[36:37]
	;; [unrolled: 1-line block ×26, first 2 shown]
	v_fma_f64 v[32:33], v[42:43], s[20:21], -v[189:190]
	v_fma_f64 v[34:35], v[40:41], s[20:21], v[46:47]
	v_fma_f64 v[64:65], v[42:43], s[20:21], v[189:190]
	v_fma_f64 v[46:47], v[40:41], s[20:21], -v[46:47]
	v_fma_f64 v[72:73], v[42:43], s[2:3], -v[60:61]
	v_fma_f64 v[74:75], v[40:41], s[2:3], v[62:63]
	v_fma_f64 v[60:61], v[42:43], s[2:3], v[60:61]
	v_fma_f64 v[62:63], v[40:41], s[2:3], -v[62:63]
	;; [unrolled: 4-line block ×6, first 2 shown]
	v_add_f64_e32 v[10:11], v[44:45], v[10:11]
	s_load_b64 s[2:3], s[0:1], 0x8
	v_add_f64_e32 v[40:41], v[4:5], v[0:1]
	v_add_f64_e32 v[42:43], v[6:7], v[2:3]
	v_mul_lo_u16 v205, v202, 13
	global_wb scope:SCOPE_SE
	s_wait_kmcnt 0x0
	s_barrier_signal -1
	s_barrier_wait -1
	global_inv scope:SCOPE_SE
	v_add_f64_e32 v[56:57], v[32:33], v[36:37]
	v_add_f64_e32 v[58:59], v[34:35], v[38:39]
	;; [unrolled: 1-line block ×24, first 2 shown]
	s_and_saveexec_b32 s4, vcc_lo
	s_cbranch_execz .LBB0_7
; %bb.6:
	v_and_b32_e32 v0, 0xffff, v205
	s_delay_alu instid0(VALU_DEP_1)
	v_lshlrev_b32_e32 v0, 4, v0
	ds_store_b128 v0, v[40:43]
	ds_store_b128 v0, v[56:59] offset:16
	ds_store_b128 v0, v[64:67] offset:32
	;; [unrolled: 1-line block ×12, first 2 shown]
.LBB0_7:
	s_wait_alu 0xfffe
	s_or_b32 exec_lo, exec_lo, s4
	s_load_b64 s[4:5], s[0:1], 0x20
	v_cmp_gt_u16_e64 s0, 0x82, v202
	global_wb scope:SCOPE_SE
	s_wait_dscnt 0x0
	s_wait_kmcnt 0x0
	s_barrier_signal -1
	s_barrier_wait -1
	global_inv scope:SCOPE_SE
	s_and_saveexec_b32 s1, s0
	s_cbranch_execz .LBB0_9
; %bb.8:
	ds_load_b128 v[40:43], v201
	ds_load_b128 v[56:59], v201 offset:2080
	ds_load_b128 v[64:67], v201 offset:4160
	ds_load_b128 v[60:63], v201 offset:6240
	ds_load_b128 v[52:55], v201 offset:8320
	ds_load_b128 v[44:47], v201 offset:10400
	ds_load_b128 v[48:51], v201 offset:12480
	ds_load_b128 v[68:71], v201 offset:14560
	ds_load_b128 v[72:75], v201 offset:16640
	ds_load_b128 v[84:87], v201 offset:18720
	ds_load_b128 v[88:91], v201 offset:20800
.LBB0_9:
	s_wait_alu 0xfffe
	s_or_b32 exec_lo, exec_lo, s1
	v_and_b32_e32 v0, 0xff, v202
	s_mov_b32 s6, 0xf8bb580b
	s_mov_b32 s7, 0xbfe14ced
	;; [unrolled: 1-line block ×4, first 2 shown]
	v_mul_lo_u16 v0, 0x4f, v0
	s_mov_b32 s11, 0x3feaeb8c
	s_mov_b32 s15, 0xbfed1bb4
	;; [unrolled: 1-line block ×4, first 2 shown]
	v_lshrrev_b16 v165, 10, v0
	s_mov_b32 s17, 0x3fda9628
	s_mov_b32 s19, 0xbfefac9e
	;; [unrolled: 1-line block ×4, first 2 shown]
	v_mul_lo_u16 v0, v165, 13
	s_mov_b32 s23, 0xbfc2375f
	s_mov_b32 s21, 0xbfe82f19
	;; [unrolled: 1-line block ×4, first 2 shown]
	v_sub_nc_u16 v0, v202, v0
	s_mov_b32 s25, 0xbfe4f49e
	s_mov_b32 s27, 0xbfd207e7
	;; [unrolled: 1-line block ×4, first 2 shown]
	v_and_b32_e32 v203, 0xff, v0
	v_and_b32_e32 v204, 0xffff, v165
	s_delay_alu instid0(VALU_DEP_2) | instskip(NEXT) | instid1(VALU_DEP_1)
	v_mul_u32_u24_e32 v0, 10, v203
	v_lshlrev_b32_e32 v32, 4, v0
	s_clause 0x9
	global_load_b128 v[0:3], v32, s[2:3]
	global_load_b128 v[4:7], v32, s[2:3] offset:144
	global_load_b128 v[8:11], v32, s[2:3] offset:16
	;; [unrolled: 1-line block ×9, first 2 shown]
	global_wb scope:SCOPE_SE
	s_wait_loadcnt_dscnt 0x0
	s_barrier_signal -1
	s_barrier_wait -1
	global_inv scope:SCOPE_SE
	v_mul_f64_e32 v[92:93], v[58:59], v[2:3]
	v_mul_f64_e32 v[94:95], v[56:57], v[2:3]
	;; [unrolled: 1-line block ×8, first 2 shown]
	v_fma_f64 v[122:123], v[56:57], v[0:1], -v[92:93]
	v_fma_f64 v[139:140], v[58:59], v[0:1], v[94:95]
	v_fma_f64 v[58:59], v[90:91], v[4:5], v[96:97]
	v_fma_f64 v[56:57], v[88:89], v[4:5], -v[98:99]
	v_mul_f64_e32 v[90:91], v[62:63], v[18:19]
	v_mul_f64_e32 v[92:93], v[60:61], v[18:19]
	v_mul_f64_e32 v[94:95], v[74:75], v[22:23]
	v_mul_f64_e32 v[96:97], v[72:73], v[22:23]
	v_fma_f64 v[126:127], v[64:65], v[8:9], -v[100:101]
	v_fma_f64 v[133:134], v[66:67], v[8:9], v[102:103]
	v_fma_f64 v[66:67], v[86:87], v[12:13], v[106:107]
	v_fma_f64 v[64:65], v[84:85], v[12:13], -v[104:105]
	v_mul_f64_e32 v[84:85], v[54:55], v[26:27]
	v_mul_f64_e32 v[86:87], v[52:53], v[26:27]
	;; [unrolled: 1-line block ×6, first 2 shown]
	v_add_f64_e64 v[108:109], v[139:140], -v[58:59]
	v_add_f64_e64 v[88:89], v[122:123], -v[56:57]
	v_fma_f64 v[141:142], v[60:61], v[16:17], -v[90:91]
	v_fma_f64 v[145:146], v[62:63], v[16:17], v[92:93]
	v_fma_f64 v[60:61], v[72:73], v[20:21], -v[94:95]
	v_fma_f64 v[62:63], v[74:75], v[20:21], v[96:97]
	v_add_f64_e32 v[72:73], v[122:123], v[56:57]
	v_add_f64_e32 v[120:121], v[139:140], v[58:59]
	v_add_f64_e64 v[114:115], v[133:134], -v[66:67]
	v_add_f64_e64 v[92:93], v[126:127], -v[64:65]
	v_mul_f64_e32 v[74:75], v[46:47], v[38:39]
	v_mul_f64_e32 v[90:91], v[44:45], v[38:39]
	v_fma_f64 v[135:136], v[52:53], v[24:25], -v[84:85]
	v_fma_f64 v[137:138], v[54:55], v[24:25], v[86:87]
	v_fma_f64 v[52:53], v[68:69], v[28:29], -v[100:101]
	v_fma_f64 v[54:55], v[70:71], v[28:29], v[102:103]
	v_add_f64_e32 v[94:95], v[126:127], v[64:65]
	v_add_f64_e32 v[131:132], v[133:134], v[66:67]
	v_fma_f64 v[102:103], v[48:49], v[32:33], -v[104:105]
	v_fma_f64 v[106:107], v[50:51], v[32:33], v[106:107]
	s_wait_alu 0xfffe
	v_mul_f64_e32 v[96:97], s[6:7], v[108:109]
	v_mul_f64_e32 v[98:99], s[6:7], v[88:89]
	v_add_f64_e64 v[68:69], v[141:142], -v[60:61]
	v_add_f64_e64 v[143:144], v[145:146], -v[62:63]
	v_add_f64_e32 v[147:148], v[145:146], v[62:63]
	v_mul_f64_e32 v[116:117], s[14:15], v[114:115]
	v_mul_f64_e32 v[118:119], s[14:15], v[92:93]
	v_fma_f64 v[124:125], v[44:45], v[36:37], -v[74:75]
	v_fma_f64 v[129:130], v[46:47], v[36:37], v[90:91]
	v_add_f64_e32 v[90:91], v[141:142], v[60:61]
	v_add_f64_e64 v[48:49], v[135:136], -v[52:53]
	v_add_f64_e64 v[149:150], v[137:138], -v[54:55]
	v_add_f64_e32 v[50:51], v[135:136], v[52:53]
	v_add_f64_e32 v[151:152], v[137:138], v[54:55]
	v_fma_f64 v[70:71], v[72:73], s[10:11], v[96:97]
	v_fma_f64 v[84:85], v[120:121], s[10:11], -v[98:99]
	v_mul_f64_e32 v[112:113], s[18:19], v[68:69]
	v_mul_f64_e32 v[110:111], s[18:19], v[143:144]
	v_fma_f64 v[46:47], v[94:95], s[16:17], v[116:117]
	v_fma_f64 v[74:75], v[131:132], s[16:17], -v[118:119]
	v_add_f64_e64 v[44:45], v[124:125], -v[102:103]
	v_add_f64_e64 v[153:154], v[129:130], -v[106:107]
	v_add_f64_e32 v[155:156], v[129:130], v[106:107]
	v_mul_f64_e32 v[104:105], s[20:21], v[48:49]
	v_mul_f64_e32 v[100:101], s[20:21], v[149:150]
	v_add_f64_e32 v[70:71], v[40:41], v[70:71]
	v_add_f64_e32 v[84:85], v[42:43], v[84:85]
	v_fma_f64 v[157:158], v[147:148], s[22:23], -v[112:113]
	v_fma_f64 v[86:87], v[90:91], s[22:23], v[110:111]
	v_fma_f64 v[163:164], v[151:152], s[24:25], -v[104:105]
	v_fma_f64 v[161:162], v[50:51], s[24:25], v[100:101]
	v_add_f64_e32 v[159:160], v[46:47], v[70:71]
	v_add_f64_e32 v[84:85], v[74:75], v[84:85]
	;; [unrolled: 1-line block ×3, first 2 shown]
	v_mul_f64_e32 v[70:71], s[26:27], v[153:154]
	v_mul_f64_e32 v[74:75], s[26:27], v[44:45]
	v_add_f64_e32 v[86:87], v[86:87], v[159:160]
	v_add_f64_e32 v[84:85], v[157:158], v[84:85]
	s_delay_alu instid0(VALU_DEP_4) | instskip(NEXT) | instid1(VALU_DEP_4)
	v_fma_f64 v[157:158], v[46:47], s[28:29], v[70:71]
	v_fma_f64 v[159:160], v[155:156], s[28:29], -v[74:75]
	s_delay_alu instid0(VALU_DEP_4) | instskip(NEXT) | instid1(VALU_DEP_4)
	v_add_f64_e32 v[86:87], v[161:162], v[86:87]
	v_add_f64_e32 v[161:162], v[163:164], v[84:85]
	s_delay_alu instid0(VALU_DEP_2) | instskip(NEXT) | instid1(VALU_DEP_2)
	v_add_f64_e32 v[84:85], v[157:158], v[86:87]
	v_add_f64_e32 v[86:87], v[159:160], v[161:162]
	s_and_saveexec_b32 s1, s0
	s_cbranch_execz .LBB0_11
; %bb.10:
	v_add_f64_e32 v[139:140], v[42:43], v[139:140]
	v_add_f64_e32 v[122:123], v[40:41], v[122:123]
	v_mul_f64_e32 v[177:178], s[28:29], v[120:121]
	v_mul_f64_e32 v[183:184], s[26:27], v[108:109]
	;; [unrolled: 1-line block ×7, first 2 shown]
	s_mov_b32 s35, 0x3fefac9e
	s_mov_b32 s34, s18
	;; [unrolled: 1-line block ×8, first 2 shown]
	v_mul_f64_e32 v[157:158], s[16:17], v[94:95]
	v_mul_f64_e32 v[159:160], s[16:17], v[131:132]
	;; [unrolled: 1-line block ×7, first 2 shown]
	s_wait_alu 0xfffe
	v_mul_f64_e32 v[222:223], s[36:37], v[114:115]
	v_mul_f64_e32 v[226:227], s[34:35], v[114:115]
	;; [unrolled: 1-line block ×3, first 2 shown]
	s_mov_b32 s39, 0x3fed1bb4
	s_mov_b32 s38, s14
	v_mul_f64_e32 v[161:162], s[22:23], v[90:91]
	v_mul_f64_e32 v[173:174], s[24:25], v[147:148]
	;; [unrolled: 1-line block ×5, first 2 shown]
	s_wait_alu 0xfffe
	v_mul_f64_e32 v[228:229], s[38:39], v[143:144]
	v_mul_f64_e32 v[143:144], s[40:41], v[143:144]
	;; [unrolled: 1-line block ×4, first 2 shown]
	v_add_f64_e32 v[133:134], v[139:140], v[133:134]
	v_add_f64_e32 v[122:123], v[122:123], v[126:127]
	v_mul_f64_e32 v[139:140], s[10:11], v[120:121]
	v_mul_f64_e32 v[120:121], s[16:17], v[120:121]
	;; [unrolled: 1-line block ×3, first 2 shown]
	v_fma_f64 v[230:231], v[88:89], s[40:41], v[177:178]
	v_fma_f64 v[232:233], v[72:73], s[28:29], v[183:184]
	;; [unrolled: 1-line block ×5, first 2 shown]
	v_fma_f64 v[242:243], v[72:73], s[16:17], -v[195:196]
	v_fma_f64 v[177:178], v[88:89], s[26:27], v[177:178]
	v_fma_f64 v[185:186], v[88:89], s[20:21], v[185:186]
	v_fma_f64 v[244:245], v[72:73], s[22:23], -v[108:109]
	v_fma_f64 v[183:184], v[72:73], s[28:29], -v[183:184]
	;; [unrolled: 1-line block ×3, first 2 shown]
	v_fma_f64 v[193:194], v[88:89], s[34:35], v[193:194]
	v_fma_f64 v[108:109], v[72:73], s[22:23], v[108:109]
	v_fma_f64 v[72:73], v[72:73], s[16:17], v[195:196]
	v_add_f64_e32 v[118:119], v[118:119], v[159:160]
	v_add_f64_e64 v[116:117], v[157:158], -v[116:117]
	v_mul_f64_e32 v[191:192], s[28:29], v[151:152]
	v_fma_f64 v[195:196], v[92:93], s[30:31], v[131:132]
	v_mul_f64_e32 v[206:207], s[26:27], v[149:150]
	v_fma_f64 v[157:158], v[94:95], s[10:11], v[222:223]
	v_fma_f64 v[159:160], v[94:95], s[10:11], -v[222:223]
	v_fma_f64 v[222:223], v[94:95], s[28:29], v[114:115]
	v_mul_f64_e32 v[216:217], s[6:7], v[149:150]
	v_mul_f64_e32 v[220:221], s[38:39], v[149:150]
	;; [unrolled: 1-line block ×3, first 2 shown]
	v_add_f64_e64 v[110:111], v[161:162], -v[110:111]
	v_mul_f64_e32 v[167:168], s[28:29], v[155:156]
	v_mul_f64_e32 v[169:170], s[22:23], v[155:156]
	;; [unrolled: 1-line block ×4, first 2 shown]
	v_fma_f64 v[161:162], v[90:91], s[28:29], v[143:144]
	v_mul_f64_e32 v[210:211], s[24:25], v[155:156]
	v_mul_f64_e32 v[214:215], s[20:21], v[153:154]
	v_add_f64_e32 v[133:134], v[133:134], v[145:146]
	v_add_f64_e32 v[122:123], v[122:123], v[141:142]
	;; [unrolled: 1-line block ×3, first 2 shown]
	v_fma_f64 v[240:241], v[88:89], s[14:15], v[120:121]
	v_fma_f64 v[88:89], v[88:89], s[38:39], v[120:121]
	v_add_f64_e64 v[96:97], v[126:127], -v[96:97]
	v_mul_f64_e32 v[141:142], s[22:23], v[147:148]
	v_fma_f64 v[126:127], v[92:93], s[36:37], v[175:176]
	v_fma_f64 v[139:140], v[92:93], s[26:27], v[212:213]
	v_mul_f64_e32 v[145:146], s[24:25], v[50:51]
	v_mul_f64_e32 v[155:156], s[10:11], v[155:156]
	v_add_f64_e32 v[177:178], v[42:43], v[177:178]
	v_add_f64_e32 v[185:186], v[42:43], v[185:186]
	v_mul_f64_e32 v[224:225], s[38:39], v[153:154]
	v_add_f64_e32 v[183:184], v[40:41], v[183:184]
	v_add_f64_e32 v[187:188], v[40:41], v[187:188]
	v_add_f64_e32 v[193:194], v[42:43], v[193:194]
	v_add_f64_e32 v[108:109], v[40:41], v[108:109]
	v_add_f64_e32 v[72:73], v[40:41], v[72:73]
	v_mul_f64_e32 v[153:154], s[36:37], v[153:154]
	v_add_f64_e32 v[104:105], v[104:105], v[163:164]
	v_mul_f64_e32 v[165:166], s[28:29], v[46:47]
	v_fma_f64 v[163:164], v[50:51], s[22:23], v[149:150]
	v_add_f64_e32 v[133:134], v[133:134], v[137:138]
	v_add_f64_e32 v[122:123], v[122:123], v[135:136]
	v_mul_f64_e32 v[137:138], s[16:17], v[147:148]
	v_mul_f64_e32 v[147:148], s[28:29], v[147:148]
	v_add_f64_e32 v[88:89], v[42:43], v[88:89]
	v_mul_f64_e32 v[135:136], s[10:11], v[151:152]
	v_mul_f64_e32 v[151:152], s[22:23], v[151:152]
	v_add_f64_e32 v[112:113], v[112:113], v[141:142]
	v_fma_f64 v[141:142], v[90:91], s[16:17], v[228:229]
	v_add_f64_e64 v[100:101], v[145:146], -v[100:101]
	v_fma_f64 v[145:146], v[50:51], s[16:17], v[220:221]
	v_add_f64_e32 v[126:127], v[126:127], v[177:178]
	v_fma_f64 v[177:178], v[50:51], s[28:29], -v[206:207]
	v_add_f64_e32 v[139:140], v[139:140], v[193:194]
	v_add_f64_e32 v[108:109], v[222:223], v[108:109]
	;; [unrolled: 1-line block ×4, first 2 shown]
	v_fma_f64 v[124:125], v[92:93], s[6:7], v[175:176]
	v_fma_f64 v[129:130], v[92:93], s[18:19], v[199:200]
	;; [unrolled: 1-line block ×6, first 2 shown]
	v_fma_f64 v[131:132], v[94:95], s[24:25], -v[218:219]
	v_fma_f64 v[212:213], v[94:95], s[22:23], v[226:227]
	v_fma_f64 v[218:219], v[94:95], s[22:23], -v[226:227]
	v_fma_f64 v[94:95], v[94:95], s[28:29], -v[114:115]
	v_add_f64_e32 v[114:115], v[42:43], v[230:231]
	v_add_f64_e32 v[226:227], v[40:41], v[232:233]
	;; [unrolled: 1-line block ×10, first 2 shown]
	v_fma_f64 v[96:97], v[68:69], s[30:31], v[173:174]
	v_fma_f64 v[242:243], v[68:69], s[14:15], v[137:138]
	;; [unrolled: 1-line block ×4, first 2 shown]
	v_add_f64_e32 v[88:89], v[195:196], v[88:89]
	v_add_f64_e32 v[108:109], v[141:142], v[108:109]
	v_fma_f64 v[141:142], v[46:47], s[24:25], v[214:215]
	v_add_f64_e32 v[98:99], v[120:121], v[106:107]
	v_add_f64_e32 v[102:103], v[122:123], v[102:103]
	v_fma_f64 v[106:107], v[90:91], s[24:25], v[181:182]
	v_fma_f64 v[120:121], v[68:69], s[20:21], v[173:174]
	v_fma_f64 v[122:123], v[90:91], s[24:25], -v[181:182]
	v_fma_f64 v[173:174], v[68:69], s[36:37], v[197:198]
	v_fma_f64 v[181:182], v[90:91], s[10:11], v[208:209]
	;; [unrolled: 1-line block ×3, first 2 shown]
	v_fma_f64 v[208:209], v[90:91], s[10:11], -v[208:209]
	v_fma_f64 v[68:69], v[68:69], s[40:41], v[147:148]
	v_fma_f64 v[147:148], v[90:91], s[16:17], -v[228:229]
	v_fma_f64 v[90:91], v[90:91], s[28:29], -v[143:144]
	v_add_f64_e32 v[114:115], v[124:125], v[114:115]
	v_add_f64_e32 v[124:125], v[157:158], v[226:227]
	;; [unrolled: 1-line block ×14, first 2 shown]
	v_fma_f64 v[116:117], v[48:49], s[40:41], v[191:192]
	v_fma_f64 v[118:119], v[50:51], s[28:29], v[206:207]
	;; [unrolled: 1-line block ×5, first 2 shown]
	v_fma_f64 v[187:188], v[50:51], s[10:11], -v[216:217]
	v_add_f64_e32 v[88:89], v[244:245], v[88:89]
	v_add_f64_e32 v[54:55], v[98:99], v[54:55]
	;; [unrolled: 1-line block ×3, first 2 shown]
	v_fma_f64 v[98:99], v[48:49], s[14:15], v[171:172]
	v_fma_f64 v[102:103], v[48:49], s[38:39], v[171:172]
	;; [unrolled: 1-line block ×5, first 2 shown]
	v_fma_f64 v[151:152], v[50:51], s[16:17], -v[220:221]
	v_fma_f64 v[50:51], v[50:51], s[22:23], -v[149:150]
	v_fma_f64 v[149:150], v[44:45], s[6:7], v[155:156]
	v_fma_f64 v[155:156], v[44:45], s[36:37], v[155:156]
	v_add_f64_e32 v[96:97], v[96:97], v[114:115]
	v_add_f64_e32 v[106:107], v[106:107], v[124:125]
	;; [unrolled: 1-line block ×16, first 2 shown]
	v_fma_f64 v[161:162], v[46:47], s[10:11], v[153:154]
	v_fma_f64 v[153:154], v[46:47], s[10:11], -v[153:154]
	v_fma_f64 v[110:111], v[44:45], s[18:19], v[169:170]
	v_fma_f64 v[112:113], v[46:47], s[22:23], -v[179:180]
	v_fma_f64 v[131:132], v[44:45], s[14:15], v[189:190]
	v_fma_f64 v[137:138], v[44:45], s[38:39], v[189:190]
	;; [unrolled: 1-line block ×4, first 2 shown]
	v_fma_f64 v[147:148], v[46:47], s[24:25], -v[214:215]
	v_add_f64_e32 v[157:158], v[74:75], v[167:168]
	v_add_f64_e32 v[54:55], v[54:55], v[62:63]
	;; [unrolled: 1-line block ×3, first 2 shown]
	v_fma_f64 v[60:61], v[44:45], s[34:35], v[169:170]
	v_fma_f64 v[62:63], v[46:47], s[22:23], v[179:180]
	v_add_f64_e64 v[159:160], v[165:166], -v[70:71]
	v_fma_f64 v[70:71], v[46:47], s[16:17], v[224:225]
	v_fma_f64 v[74:75], v[46:47], s[16:17], -v[224:225]
	v_add_f64_e32 v[108:109], v[185:186], v[108:109]
	v_add_f64_e32 v[88:89], v[191:192], v[88:89]
	;; [unrolled: 1-line block ×38, first 2 shown]
	v_mul_u32_u24_e32 v92, 0x8f, v204
	s_delay_alu instid0(VALU_DEP_1)
	v_add_lshl_u32 v92, v92, v203, 4
	v_add_f64_e32 v[58:59], v[120:121], v[58:59]
	v_add_f64_e32 v[56:57], v[122:123], v[56:57]
	ds_store_b128 v92, v[64:67] offset:416
	ds_store_b128 v92, v[60:63] offset:624
	;; [unrolled: 1-line block ×8, first 2 shown]
	ds_store_b128 v92, v[56:59]
	ds_store_b128 v92, v[88:91] offset:208
	ds_store_b128 v92, v[84:87] offset:2080
.LBB0_11:
	s_wait_alu 0xfffe
	s_or_b32 exec_lo, exec_lo, s1
	v_mad_co_u64_u32 v[44:45], null, 0x90, v202, s[2:3]
	s_load_b128 s[4:7], s[4:5], 0x0
	global_wb scope:SCOPE_SE
	s_wait_dscnt 0x0
	s_wait_kmcnt 0x0
	s_barrier_signal -1
	s_barrier_wait -1
	global_inv scope:SCOPE_SE
	s_mov_b32 s10, 0x134454ff
	s_clause 0x8
	global_load_b128 v[60:63], v[44:45], off offset:2112
	global_load_b128 v[68:71], v[44:45], off offset:2144
	;; [unrolled: 1-line block ×9, first 2 shown]
	ds_load_b128 v[88:91], v201 offset:6864
	ds_load_b128 v[92:95], v201 offset:11440
	;; [unrolled: 1-line block ×6, first 2 shown]
	s_mov_b32 s11, 0x3fee6f0e
	s_mov_b32 s3, 0xbfee6f0e
	s_wait_alu 0xfffe
	s_mov_b32 s2, s10
	s_mov_b32 s16, 0x4755a5e
	;; [unrolled: 1-line block ×4, first 2 shown]
	s_wait_alu 0xfffe
	s_mov_b32 s14, s16
	s_mov_b32 s18, 0x372fe950
	;; [unrolled: 1-line block ×5, first 2 shown]
	s_wait_loadcnt_dscnt 0x805
	v_mul_f64_e32 v[112:113], v[90:91], v[62:63]
	v_mul_f64_e32 v[114:115], v[88:89], v[62:63]
	s_wait_loadcnt_dscnt 0x704
	v_mul_f64_e32 v[116:117], v[94:95], v[70:71]
	v_mul_f64_e32 v[118:119], v[92:93], v[70:71]
	s_wait_loadcnt_dscnt 0x603
	v_mul_f64_e32 v[120:121], v[96:97], v[66:67]
	s_wait_loadcnt_dscnt 0x502
	v_mul_f64_e32 v[122:123], v[100:101], v[74:75]
	v_mul_f64_e32 v[124:125], v[102:103], v[74:75]
	v_mul_f64_e32 v[126:127], v[98:99], v[66:67]
	s_wait_loadcnt_dscnt 0x401
	v_mul_f64_e32 v[129:130], v[106:107], v[42:43]
	v_mul_f64_e32 v[131:132], v[104:105], v[42:43]
	v_fma_f64 v[112:113], v[88:89], v[60:61], -v[112:113]
	v_fma_f64 v[114:115], v[90:91], v[60:61], v[114:115]
	v_fma_f64 v[116:117], v[92:93], v[68:69], -v[116:117]
	v_fma_f64 v[118:119], v[94:95], v[68:69], v[118:119]
	v_fma_f64 v[120:121], v[98:99], v[64:65], v[120:121]
	;; [unrolled: 1-line block ×3, first 2 shown]
	v_fma_f64 v[100:101], v[100:101], v[72:73], -v[124:125]
	v_fma_f64 v[122:123], v[96:97], v[64:65], -v[126:127]
	ds_load_b128 v[88:91], v201 offset:9152
	ds_load_b128 v[92:95], v201 offset:13728
	;; [unrolled: 1-line block ×3, first 2 shown]
	s_wait_loadcnt_dscnt 0x303
	v_mul_f64_e32 v[124:125], v[110:111], v[58:59]
	v_mul_f64_e32 v[126:127], v[108:109], v[58:59]
	v_fma_f64 v[104:105], v[104:105], v[40:41], -v[129:130]
	v_fma_f64 v[106:107], v[106:107], v[40:41], v[131:132]
	s_wait_loadcnt_dscnt 0x202
	v_mul_f64_e32 v[133:134], v[90:91], v[54:55]
	v_mul_f64_e32 v[135:136], v[88:89], v[54:55]
	s_wait_loadcnt_dscnt 0x101
	v_mul_f64_e32 v[137:138], v[94:95], v[50:51]
	s_wait_loadcnt_dscnt 0x0
	v_mul_f64_e32 v[139:140], v[98:99], v[46:47]
	v_mul_f64_e32 v[141:142], v[92:93], v[50:51]
	;; [unrolled: 1-line block ×3, first 2 shown]
	v_add_f64_e64 v[153:154], v[112:113], -v[116:117]
	v_add_f64_e64 v[157:158], v[116:117], -v[112:113]
	v_add_f64_e32 v[129:130], v[118:119], v[120:121]
	v_add_f64_e32 v[131:132], v[114:115], v[102:103]
	;; [unrolled: 1-line block ×4, first 2 shown]
	v_add_f64_e64 v[155:156], v[100:101], -v[122:123]
	v_fma_f64 v[108:109], v[108:109], v[56:57], -v[124:125]
	v_fma_f64 v[110:111], v[110:111], v[56:57], v[126:127]
	v_add_f64_e64 v[159:160], v[122:123], -v[100:101]
	v_add_f64_e64 v[161:162], v[114:115], -v[118:119]
	;; [unrolled: 1-line block ×5, first 2 shown]
	v_fma_f64 v[124:125], v[88:89], v[52:53], -v[133:134]
	v_fma_f64 v[126:127], v[90:91], v[52:53], v[135:136]
	v_fma_f64 v[92:93], v[92:93], v[48:49], -v[137:138]
	v_fma_f64 v[96:97], v[96:97], v[44:45], -v[139:140]
	v_fma_f64 v[94:95], v[94:95], v[48:49], v[141:142]
	v_fma_f64 v[98:99], v[98:99], v[44:45], v[143:144]
	v_add_f64_e64 v[133:134], v[114:115], -v[102:103]
	v_add_f64_e64 v[135:136], v[118:119], -v[120:121]
	;; [unrolled: 1-line block ×4, first 2 shown]
	ds_load_b128 v[88:91], v201
	v_fma_f64 v[129:130], v[129:130], -0.5, v[106:107]
	v_fma_f64 v[131:132], v[131:132], -0.5, v[106:107]
	;; [unrolled: 1-line block ×4, first 2 shown]
	v_add_f64_e32 v[104:105], v[104:105], v[112:113]
	v_add_f64_e32 v[106:107], v[106:107], v[114:115]
	s_wait_dscnt 0x0
	v_add_f64_e32 v[177:178], v[88:89], v[108:109]
	v_add_f64_e32 v[183:184], v[90:91], v[110:111]
	;; [unrolled: 1-line block ×6, first 2 shown]
	v_add_f64_e64 v[179:180], v[110:111], -v[98:99]
	v_add_f64_e64 v[181:182], v[126:127], -v[94:95]
	v_add_f64_e64 v[185:186], v[108:109], -v[96:97]
	v_add_f64_e64 v[187:188], v[124:125], -v[92:93]
	v_fma_f64 v[169:170], v[137:138], s[2:3], v[129:130]
	v_fma_f64 v[171:172], v[139:140], s[10:11], v[131:132]
	;; [unrolled: 1-line block ×8, first 2 shown]
	v_add_f64_e32 v[104:105], v[104:105], v[116:117]
	v_add_f64_e32 v[106:107], v[106:107], v[118:119]
	v_fma_f64 v[112:113], v[145:146], -0.5, v[88:89]
	v_fma_f64 v[88:89], v[147:148], -0.5, v[88:89]
	;; [unrolled: 1-line block ×4, first 2 shown]
	v_add_f64_e32 v[145:146], v[153:154], v[155:156]
	v_add_f64_e32 v[147:148], v[157:158], v[159:160]
	;; [unrolled: 1-line block ×4, first 2 shown]
	v_add_f64_e64 v[161:162], v[98:99], -v[94:95]
	v_add_f64_e64 v[163:164], v[94:95], -v[98:99]
	s_wait_alu 0xfffe
	v_fma_f64 v[153:154], v[139:140], s[14:15], v[169:170]
	v_fma_f64 v[155:156], v[137:138], s[14:15], v[171:172]
	;; [unrolled: 1-line block ×8, first 2 shown]
	v_add_f64_e64 v[137:138], v[108:109], -v[124:125]
	v_add_f64_e64 v[139:140], v[96:97], -v[92:93]
	;; [unrolled: 1-line block ×6, first 2 shown]
	v_add_f64_e32 v[124:125], v[177:178], v[124:125]
	v_add_f64_e32 v[126:127], v[183:184], v[126:127]
	;; [unrolled: 1-line block ×4, first 2 shown]
	v_fma_f64 v[116:117], v[179:180], s[10:11], v[112:113]
	v_fma_f64 v[112:113], v[179:180], s[2:3], v[112:113]
	;; [unrolled: 1-line block ×16, first 2 shown]
	v_add_f64_e32 v[137:138], v[137:138], v[139:140]
	v_add_f64_e32 v[108:109], v[108:109], v[141:142]
	;; [unrolled: 1-line block ×6, first 2 shown]
	v_fma_f64 v[116:117], v[181:182], s[16:17], v[116:117]
	v_fma_f64 v[112:113], v[181:182], s[14:15], v[112:113]
	;; [unrolled: 1-line block ×8, first 2 shown]
	v_mul_f64_e32 v[124:125], s[16:17], v[153:154]
	v_mul_f64_e32 v[126:127], s[10:11], v[155:156]
	;; [unrolled: 1-line block ×8, first 2 shown]
	v_add_f64_e32 v[92:93], v[92:93], v[96:97]
	v_add_f64_e32 v[94:95], v[94:95], v[98:99]
	v_add_f64_e32 v[96:97], v[104:105], v[100:101]
	v_add_f64_e32 v[98:99], v[106:107], v[102:103]
	v_fma_f64 v[161:162], v[137:138], s[18:19], v[116:117]
	v_fma_f64 v[137:138], v[137:138], s[18:19], v[112:113]
	;; [unrolled: 1-line block ×10, first 2 shown]
	v_fma_f64 v[126:127], v[131:132], s[10:11], -v[141:142]
	v_fma_f64 v[129:130], v[129:130], s[16:17], -v[143:144]
	v_fma_f64 v[131:132], v[153:154], s[20:21], v[145:146]
	v_fma_f64 v[133:134], v[155:156], s[18:19], v[147:148]
	v_fma_f64 v[135:136], v[157:158], s[2:3], -v[149:150]
	v_fma_f64 v[141:142], v[159:160], s[14:15], -v[151:152]
	v_add_f64_e32 v[88:89], v[92:93], v[96:97]
	v_add_f64_e32 v[90:91], v[94:95], v[98:99]
	v_add_f64_e64 v[116:117], v[92:93], -v[96:97]
	v_add_f64_e64 v[118:119], v[94:95], -v[98:99]
	v_add_f64_e32 v[92:93], v[161:162], v[120:121]
	v_add_f64_e32 v[96:97], v[112:113], v[122:123]
	;; [unrolled: 1-line block ×8, first 2 shown]
	v_add_f64_e64 v[124:125], v[161:162], -v[120:121]
	v_add_f64_e64 v[120:121], v[112:113], -v[122:123]
	;; [unrolled: 1-line block ×8, first 2 shown]
	ds_store_b128 v201, v[88:91]
	ds_store_b128 v201, v[92:95] offset:2288
	ds_store_b128 v201, v[96:99] offset:4576
	;; [unrolled: 1-line block ×9, first 2 shown]
	global_wb scope:SCOPE_SE
	s_wait_dscnt 0x0
	s_barrier_signal -1
	s_barrier_wait -1
	global_inv scope:SCOPE_SE
	s_and_saveexec_b32 s1, vcc_lo
	s_cbranch_execz .LBB0_13
; %bb.12:
	global_load_b128 v[129:132], v201, s[8:9] offset:22880
	s_add_nc_u64 s[2:3], s[8:9], 0x5960
	s_clause 0x3
	global_load_b128 v[133:136], v201, s[2:3] offset:1760
	global_load_b128 v[137:140], v201, s[2:3] offset:3520
	;; [unrolled: 1-line block ×4, first 2 shown]
	ds_load_b128 v[149:152], v201
	ds_load_b128 v[153:156], v201 offset:1760
	ds_load_b128 v[157:160], v201 offset:21120
	s_wait_loadcnt_dscnt 0x301
	v_mul_f64_e32 v[165:166], v[155:156], v[135:136]
	v_mul_f64_e32 v[161:162], v[151:152], v[131:132]
	;; [unrolled: 1-line block ×4, first 2 shown]
	s_delay_alu instid0(VALU_DEP_4) | instskip(NEXT) | instid1(VALU_DEP_4)
	v_fma_f64 v[153:154], v[153:154], v[133:134], -v[165:166]
	v_fma_f64 v[149:150], v[149:150], v[129:130], -v[161:162]
	s_delay_alu instid0(VALU_DEP_4)
	v_fma_f64 v[151:152], v[151:152], v[129:130], v[131:132]
	ds_load_b128 v[129:132], v201 offset:3520
	ds_load_b128 v[161:164], v201 offset:5280
	v_fma_f64 v[155:156], v[155:156], v[133:134], v[135:136]
	s_wait_loadcnt_dscnt 0x201
	v_mul_f64_e32 v[133:134], v[131:132], v[139:140]
	v_mul_f64_e32 v[135:136], v[129:130], v[139:140]
	s_wait_loadcnt_dscnt 0x100
	v_mul_f64_e32 v[165:166], v[163:164], v[143:144]
	v_mul_f64_e32 v[143:144], v[161:162], v[143:144]
	s_delay_alu instid0(VALU_DEP_4) | instskip(NEXT) | instid1(VALU_DEP_4)
	v_fma_f64 v[129:130], v[129:130], v[137:138], -v[133:134]
	v_fma_f64 v[131:132], v[131:132], v[137:138], v[135:136]
	ds_load_b128 v[137:140], v201 offset:7040
	global_load_b128 v[133:136], v201, s[2:3] offset:8800
	v_fma_f64 v[161:162], v[161:162], v[141:142], -v[165:166]
	v_fma_f64 v[163:164], v[163:164], v[141:142], v[143:144]
	ds_load_b128 v[141:144], v201 offset:8800
	s_wait_loadcnt_dscnt 0x101
	v_mul_f64_e32 v[165:166], v[139:140], v[147:148]
	v_mul_f64_e32 v[147:148], v[137:138], v[147:148]
	s_delay_alu instid0(VALU_DEP_2) | instskip(NEXT) | instid1(VALU_DEP_2)
	v_fma_f64 v[137:138], v[137:138], v[145:146], -v[165:166]
	v_fma_f64 v[139:140], v[139:140], v[145:146], v[147:148]
	global_load_b128 v[145:148], v201, s[2:3] offset:10560
	s_wait_loadcnt_dscnt 0x100
	v_mul_f64_e32 v[165:166], v[143:144], v[135:136]
	v_mul_f64_e32 v[135:136], v[141:142], v[135:136]
	s_delay_alu instid0(VALU_DEP_2) | instskip(NEXT) | instid1(VALU_DEP_2)
	v_fma_f64 v[141:142], v[141:142], v[133:134], -v[165:166]
	v_fma_f64 v[143:144], v[143:144], v[133:134], v[135:136]
	ds_load_b128 v[133:136], v201 offset:10560
	ds_load_b128 v[165:168], v201 offset:12320
	s_wait_loadcnt_dscnt 0x1
	v_mul_f64_e32 v[169:170], v[135:136], v[147:148]
	v_mul_f64_e32 v[147:148], v[133:134], v[147:148]
	s_delay_alu instid0(VALU_DEP_2) | instskip(NEXT) | instid1(VALU_DEP_2)
	v_fma_f64 v[133:134], v[133:134], v[145:146], -v[169:170]
	v_fma_f64 v[135:136], v[135:136], v[145:146], v[147:148]
	s_clause 0x1
	global_load_b128 v[145:148], v201, s[2:3] offset:12320
	global_load_b128 v[169:172], v201, s[2:3] offset:14080
	s_wait_loadcnt_dscnt 0x100
	v_mul_f64_e32 v[173:174], v[167:168], v[147:148]
	v_mul_f64_e32 v[147:148], v[165:166], v[147:148]
	s_delay_alu instid0(VALU_DEP_2) | instskip(NEXT) | instid1(VALU_DEP_2)
	v_fma_f64 v[165:166], v[165:166], v[145:146], -v[173:174]
	v_fma_f64 v[167:168], v[167:168], v[145:146], v[147:148]
	ds_load_b128 v[145:148], v201 offset:14080
	ds_load_b128 v[173:176], v201 offset:15840
	s_wait_loadcnt_dscnt 0x1
	v_mul_f64_e32 v[177:178], v[147:148], v[171:172]
	v_mul_f64_e32 v[171:172], v[145:146], v[171:172]
	s_delay_alu instid0(VALU_DEP_2) | instskip(NEXT) | instid1(VALU_DEP_2)
	v_fma_f64 v[145:146], v[145:146], v[169:170], -v[177:178]
	v_fma_f64 v[147:148], v[147:148], v[169:170], v[171:172]
	s_clause 0x1
	global_load_b128 v[169:172], v201, s[2:3] offset:15840
	;; [unrolled: 17-line block ×3, first 2 shown]
	global_load_b128 v[189:192], v201, s[2:3] offset:21120
	s_wait_loadcnt_dscnt 0x100
	v_mul_f64_e32 v[169:170], v[187:188], v[181:182]
	v_mul_f64_e32 v[183:184], v[185:186], v[181:182]
	s_delay_alu instid0(VALU_DEP_2) | instskip(NEXT) | instid1(VALU_DEP_2)
	v_fma_f64 v[181:182], v[185:186], v[179:180], -v[169:170]
	v_fma_f64 v[183:184], v[187:188], v[179:180], v[183:184]
	s_wait_loadcnt 0x0
	v_mul_f64_e32 v[169:170], v[159:160], v[191:192]
	v_mul_f64_e32 v[179:180], v[157:158], v[191:192]
	s_delay_alu instid0(VALU_DEP_2) | instskip(NEXT) | instid1(VALU_DEP_2)
	v_fma_f64 v[157:158], v[157:158], v[189:190], -v[169:170]
	v_fma_f64 v[159:160], v[159:160], v[189:190], v[179:180]
	ds_store_b128 v201, v[149:152]
	ds_store_b128 v201, v[153:156] offset:1760
	ds_store_b128 v201, v[129:132] offset:3520
	;; [unrolled: 1-line block ×12, first 2 shown]
.LBB0_13:
	s_wait_alu 0xfffe
	s_or_b32 exec_lo, exec_lo, s1
	global_wb scope:SCOPE_SE
	s_wait_dscnt 0x0
	s_barrier_signal -1
	s_barrier_wait -1
	global_inv scope:SCOPE_SE
	s_and_saveexec_b32 s1, vcc_lo
	s_cbranch_execz .LBB0_15
; %bb.14:
	ds_load_b128 v[88:91], v201
	ds_load_b128 v[92:95], v201 offset:1760
	ds_load_b128 v[96:99], v201 offset:3520
	;; [unrolled: 1-line block ×12, first 2 shown]
.LBB0_15:
	s_wait_alu 0xfffe
	s_or_b32 exec_lo, exec_lo, s1
	s_wait_dscnt 0xb
	v_add_f64_e32 v[129:130], v[88:89], v[92:93]
	v_add_f64_e32 v[131:132], v[90:91], v[94:95]
	s_wait_dscnt 0x5
	v_add_f64_e64 v[137:138], v[124:125], -v[120:121]
	v_add_f64_e64 v[139:140], v[126:127], -v[122:123]
	s_wait_dscnt 0x2
	v_add_f64_e32 v[141:142], v[100:101], v[84:85]
	v_add_f64_e64 v[206:207], v[100:101], -v[84:85]
	s_wait_dscnt 0x0
	v_add_f64_e64 v[214:215], v[94:95], -v[78:79]
	s_mov_b32 s28, 0x4267c47c
	s_mov_b32 s29, 0xbfddbe06
	v_add_f64_e32 v[143:144], v[102:103], v[86:87]
	v_add_f64_e64 v[208:209], v[102:103], -v[86:87]
	v_add_f64_e32 v[155:156], v[96:97], v[80:81]
	v_add_f64_e64 v[210:211], v[96:97], -v[80:81]
	v_add_f64_e64 v[212:213], v[98:99], -v[82:83]
	v_add_f64_e32 v[191:192], v[92:93], v[76:77]
	s_mov_b32 s2, 0xe00740e9
	s_mov_b32 s22, 0x42a4c3d2
	s_mov_b32 s3, 0x3fec55a7
	s_mov_b32 s23, 0xbfea55e2
	v_add_f64_e32 v[157:158], v[98:99], v[82:83]
	v_add_f64_e64 v[216:217], v[92:93], -v[76:77]
	s_mov_b32 s20, 0x1ea71119
	s_mov_b32 s21, 0x3fe22d96
	v_add_f64_e32 v[193:194], v[94:95], v[78:79]
	s_mov_b32 s24, 0x66966769
	s_mov_b32 s25, 0xbfefc445
	;; [unrolled: 1-line block ×14, first 2 shown]
	v_add_f64_e32 v[129:130], v[129:130], v[96:97]
	v_add_f64_e32 v[131:132], v[131:132], v[98:99]
	s_mov_b32 s14, 0x93053d00
	s_wait_alu 0xfffe
	v_mul_f64_e32 v[147:148], s[34:35], v[139:140]
	s_mov_b32 s15, 0xbfef11f4
	v_mul_f64_e32 v[165:166], s[24:25], v[206:207]
	v_mul_f64_e32 v[167:168], s[28:29], v[214:215]
	v_mul_f64_e32 v[153:154], s[34:35], v[137:138]
	v_mul_f64_e32 v[197:198], s[22:23], v[214:215]
	v_mul_f64_e32 v[189:190], s[34:35], v[206:207]
	v_mul_f64_e32 v[159:160], s[24:25], v[208:209]
	v_mul_f64_e32 v[183:184], s[34:35], v[208:209]
	v_mul_f64_e32 v[169:170], s[22:23], v[210:211]
	v_mul_f64_e32 v[163:164], s[22:23], v[212:213]
	v_mul_f64_e32 v[187:188], s[26:27], v[212:213]
	v_mul_f64_e32 v[195:196], s[26:27], v[210:211]
	s_mov_b32 s41, 0x3fe5384d
	s_mov_b32 s40, s30
	;; [unrolled: 1-line block ×4, first 2 shown]
	v_mul_f64_e32 v[171:172], s[28:29], v[216:217]
	v_mul_f64_e32 v[199:200], s[22:23], v[216:217]
	s_mov_b32 s39, 0x3fddbe06
	s_mov_b32 s38, s28
	v_mul_f64_e32 v[96:97], s[24:25], v[214:215]
	s_wait_alu 0xfffe
	v_mul_f64_e32 v[175:176], s[38:39], v[139:140]
	v_mul_f64_e32 v[181:182], s[38:39], v[137:138]
	;; [unrolled: 1-line block ×3, first 2 shown]
	s_mov_b32 s47, 0x3fcea1e5
	s_mov_b32 s46, s34
	;; [unrolled: 1-line block ×6, first 2 shown]
	global_wb scope:SCOPE_SE
	s_barrier_signal -1
	s_barrier_wait -1
	global_inv scope:SCOPE_SE
	v_add_f64_e32 v[129:130], v[129:130], v[100:101]
	v_add_f64_e32 v[131:132], v[131:132], v[102:103]
	v_mul_f64_e32 v[100:101], s[10:11], v[193:194]
	v_mul_f64_e32 v[102:103], s[14:15], v[157:158]
	v_fma_f64 v[92:93], v[157:158], s[18:19], -v[195:196]
	v_fma_f64 v[94:95], v[155:156], s[14:15], v[98:99]
	v_fma_f64 v[98:99], v[155:156], s[14:15], -v[98:99]
	v_add_f64_e32 v[129:130], v[129:130], v[104:105]
	v_add_f64_e32 v[131:132], v[131:132], v[106:107]
	s_delay_alu instid0(VALU_DEP_2) | instskip(NEXT) | instid1(VALU_DEP_2)
	v_add_f64_e32 v[129:130], v[129:130], v[116:117]
	v_add_f64_e32 v[131:132], v[131:132], v[118:119]
	s_delay_alu instid0(VALU_DEP_2) | instskip(NEXT) | instid1(VALU_DEP_2)
	v_add_f64_e32 v[133:134], v[129:130], v[124:125]
	v_add_f64_e32 v[135:136], v[131:132], v[126:127]
	;; [unrolled: 1-line block ×8, first 2 shown]
	v_add_f64_e64 v[120:121], v[116:117], -v[112:113]
	v_add_f64_e64 v[116:117], v[118:119], -v[114:115]
	v_add_f64_e32 v[135:136], v[106:107], v[110:111]
	v_add_f64_e64 v[118:119], v[106:107], -v[110:111]
	v_add_f64_e32 v[112:113], v[133:134], v[112:113]
	v_add_f64_e32 v[114:115], v[122:123], v[114:115]
	v_add_f64_e32 v[133:134], v[104:105], v[108:109]
	v_add_f64_e64 v[122:123], v[104:105], -v[108:109]
	v_mul_f64_e32 v[145:146], s[30:31], v[116:117]
	v_mul_f64_e32 v[149:150], s[26:27], v[118:119]
	;; [unrolled: 1-line block ×6, first 2 shown]
	v_add_f64_e32 v[104:105], v[112:113], v[108:109]
	v_add_f64_e32 v[106:107], v[114:115], v[110:111]
	v_mul_f64_e32 v[161:162], s[26:27], v[122:123]
	v_mul_f64_e32 v[185:186], s[40:41], v[122:123]
	s_delay_alu instid0(VALU_DEP_4) | instskip(NEXT) | instid1(VALU_DEP_4)
	v_add_f64_e32 v[84:85], v[104:105], v[84:85]
	v_add_f64_e32 v[86:87], v[106:107], v[86:87]
	v_fma_f64 v[104:105], v[210:211], s[46:47], v[102:103]
	s_delay_alu instid0(VALU_DEP_3) | instskip(NEXT) | instid1(VALU_DEP_3)
	v_add_f64_e32 v[80:81], v[84:85], v[80:81]
	v_add_f64_e32 v[82:83], v[86:87], v[82:83]
	v_fma_f64 v[84:85], v[157:158], s[20:21], -v[169:170]
	v_fma_f64 v[86:87], v[155:156], s[18:19], v[187:188]
	s_delay_alu instid0(VALU_DEP_4) | instskip(SKIP_3) | instid1(VALU_DEP_3)
	v_add_f64_e32 v[76:77], v[80:81], v[76:77]
	v_fma_f64 v[80:81], v[191:192], s[2:3], v[167:168]
	v_add_f64_e32 v[78:79], v[82:83], v[78:79]
	v_fma_f64 v[82:83], v[155:156], s[20:21], v[163:164]
	v_add_f64_e32 v[80:81], v[88:89], v[80:81]
	s_delay_alu instid0(VALU_DEP_1) | instskip(SKIP_1) | instid1(VALU_DEP_1)
	v_add_f64_e32 v[80:81], v[82:83], v[80:81]
	v_fma_f64 v[82:83], v[193:194], s[2:3], -v[171:172]
	v_add_f64_e32 v[82:83], v[90:91], v[82:83]
	s_delay_alu instid0(VALU_DEP_1) | instskip(SKIP_1) | instid1(VALU_DEP_1)
	v_add_f64_e32 v[82:83], v[84:85], v[82:83]
	v_fma_f64 v[84:85], v[141:142], s[10:11], v[159:160]
	v_add_f64_e32 v[80:81], v[84:85], v[80:81]
	v_fma_f64 v[84:85], v[143:144], s[10:11], -v[165:166]
	s_delay_alu instid0(VALU_DEP_1) | instskip(SKIP_1) | instid1(VALU_DEP_1)
	v_add_f64_e32 v[82:83], v[84:85], v[82:83]
	v_fma_f64 v[84:85], v[133:134], s[18:19], v[149:150]
	v_add_f64_e32 v[80:81], v[84:85], v[80:81]
	v_fma_f64 v[84:85], v[135:136], s[18:19], -v[161:162]
	;; [unrolled: 5-line block ×4, first 2 shown]
	s_delay_alu instid0(VALU_DEP_1) | instskip(SKIP_1) | instid1(VALU_DEP_1)
	v_add_f64_e32 v[82:83], v[84:85], v[82:83]
	v_fma_f64 v[84:85], v[191:192], s[20:21], v[197:198]
	v_add_f64_e32 v[84:85], v[88:89], v[84:85]
	s_delay_alu instid0(VALU_DEP_1) | instskip(SKIP_1) | instid1(VALU_DEP_1)
	v_add_f64_e32 v[84:85], v[86:87], v[84:85]
	v_fma_f64 v[86:87], v[193:194], s[20:21], -v[199:200]
	v_add_f64_e32 v[86:87], v[90:91], v[86:87]
	s_delay_alu instid0(VALU_DEP_1) | instskip(SKIP_1) | instid1(VALU_DEP_1)
	v_add_f64_e32 v[86:87], v[92:93], v[86:87]
	v_fma_f64 v[92:93], v[141:142], s[14:15], v[183:184]
	v_add_f64_e32 v[84:85], v[92:93], v[84:85]
	v_fma_f64 v[92:93], v[143:144], s[14:15], -v[189:190]
	s_delay_alu instid0(VALU_DEP_1) | instskip(SKIP_1) | instid1(VALU_DEP_1)
	v_add_f64_e32 v[86:87], v[92:93], v[86:87]
	v_fma_f64 v[92:93], v[133:134], s[16:17], v[177:178]
	v_add_f64_e32 v[84:85], v[92:93], v[84:85]
	v_fma_f64 v[92:93], v[135:136], s[16:17], -v[185:186]
	;; [unrolled: 5-line block ×4, first 2 shown]
	s_delay_alu instid0(VALU_DEP_1) | instskip(SKIP_2) | instid1(VALU_DEP_2)
	v_add_f64_e32 v[86:87], v[92:93], v[86:87]
	v_fma_f64 v[92:93], v[191:192], s[10:11], v[96:97]
	v_fma_f64 v[96:97], v[191:192], s[10:11], -v[96:97]
	v_add_f64_e32 v[92:93], v[88:89], v[92:93]
	s_delay_alu instid0(VALU_DEP_2) | instskip(NEXT) | instid1(VALU_DEP_2)
	v_add_f64_e32 v[96:97], v[88:89], v[96:97]
	v_add_f64_e32 v[92:93], v[94:95], v[92:93]
	v_fma_f64 v[94:95], v[216:217], s[36:37], v[100:101]
	s_delay_alu instid0(VALU_DEP_3) | instskip(SKIP_2) | instid1(VALU_DEP_4)
	v_add_f64_e32 v[96:97], v[98:99], v[96:97]
	v_fma_f64 v[98:99], v[216:217], s[24:25], v[100:101]
	v_fma_f64 v[100:101], v[210:211], s[34:35], v[102:103]
	v_add_f64_e32 v[94:95], v[90:91], v[94:95]
	s_delay_alu instid0(VALU_DEP_3) | instskip(NEXT) | instid1(VALU_DEP_2)
	v_add_f64_e32 v[98:99], v[90:91], v[98:99]
	v_add_f64_e32 v[94:95], v[104:105], v[94:95]
	v_mul_f64_e32 v[104:105], s[42:43], v[208:209]
	s_delay_alu instid0(VALU_DEP_3) | instskip(NEXT) | instid1(VALU_DEP_2)
	v_add_f64_e32 v[98:99], v[100:101], v[98:99]
	v_fma_f64 v[106:107], v[141:142], s[18:19], v[104:105]
	v_fma_f64 v[100:101], v[141:142], s[18:19], -v[104:105]
	v_mul_f64_e32 v[104:105], s[26:27], v[214:215]
	s_delay_alu instid0(VALU_DEP_3) | instskip(SKIP_1) | instid1(VALU_DEP_4)
	v_add_f64_e32 v[92:93], v[106:107], v[92:93]
	v_mul_f64_e32 v[106:107], s[18:19], v[143:144]
	v_add_f64_e32 v[96:97], v[100:101], v[96:97]
	s_delay_alu instid0(VALU_DEP_2) | instskip(SKIP_2) | instid1(VALU_DEP_3)
	v_fma_f64 v[108:109], v[206:207], s[26:27], v[106:107]
	v_fma_f64 v[100:101], v[206:207], s[42:43], v[106:107]
	v_mul_f64_e32 v[106:107], s[40:41], v[212:213]
	v_add_f64_e32 v[94:95], v[108:109], v[94:95]
	v_mul_f64_e32 v[108:109], s[38:39], v[118:119]
	s_delay_alu instid0(VALU_DEP_4) | instskip(NEXT) | instid1(VALU_DEP_2)
	v_add_f64_e32 v[98:99], v[100:101], v[98:99]
	v_fma_f64 v[110:111], v[133:134], s[2:3], v[108:109]
	v_fma_f64 v[100:101], v[133:134], s[2:3], -v[108:109]
	v_mul_f64_e32 v[108:109], s[18:19], v[193:194]
	s_delay_alu instid0(VALU_DEP_3) | instskip(SKIP_1) | instid1(VALU_DEP_4)
	v_add_f64_e32 v[92:93], v[110:111], v[92:93]
	v_mul_f64_e32 v[110:111], s[2:3], v[135:136]
	v_add_f64_e32 v[96:97], v[100:101], v[96:97]
	s_delay_alu instid0(VALU_DEP_2) | instskip(SKIP_2) | instid1(VALU_DEP_3)
	v_fma_f64 v[112:113], v[122:123], s[28:29], v[110:111]
	v_fma_f64 v[100:101], v[122:123], s[38:39], v[110:111]
	v_mul_f64_e32 v[110:111], s[16:17], v[157:158]
	v_add_f64_e32 v[94:95], v[112:113], v[94:95]
	v_mul_f64_e32 v[112:113], s[22:23], v[116:117]
	s_delay_alu instid0(VALU_DEP_4) | instskip(NEXT) | instid1(VALU_DEP_2)
	v_add_f64_e32 v[98:99], v[100:101], v[98:99]
	v_fma_f64 v[114:115], v[124:125], s[20:21], v[112:113]
	v_fma_f64 v[100:101], v[124:125], s[20:21], -v[112:113]
	v_fma_f64 v[112:113], v[210:211], s[30:31], v[110:111]
	s_delay_alu instid0(VALU_DEP_3) | instskip(SKIP_1) | instid1(VALU_DEP_4)
	v_add_f64_e32 v[92:93], v[114:115], v[92:93]
	v_mul_f64_e32 v[114:115], s[20:21], v[126:127]
	v_add_f64_e32 v[96:97], v[100:101], v[96:97]
	s_delay_alu instid0(VALU_DEP_2) | instskip(SKIP_1) | instid1(VALU_DEP_2)
	v_fma_f64 v[218:219], v[120:121], s[44:45], v[114:115]
	v_fma_f64 v[100:101], v[120:121], s[22:23], v[114:115]
	v_add_f64_e32 v[94:95], v[218:219], v[94:95]
	v_mul_f64_e32 v[218:219], s[30:31], v[139:140]
	s_delay_alu instid0(VALU_DEP_3) | instskip(NEXT) | instid1(VALU_DEP_2)
	v_add_f64_e32 v[98:99], v[100:101], v[98:99]
	v_fma_f64 v[220:221], v[129:130], s[16:17], v[218:219]
	v_fma_f64 v[100:101], v[129:130], s[16:17], -v[218:219]
	s_delay_alu instid0(VALU_DEP_2) | instskip(SKIP_1) | instid1(VALU_DEP_3)
	v_add_f64_e32 v[92:93], v[220:221], v[92:93]
	v_mul_f64_e32 v[220:221], s[16:17], v[131:132]
	v_add_f64_e32 v[100:101], v[100:101], v[96:97]
	v_fma_f64 v[96:97], v[191:192], s[18:19], v[104:105]
	v_fma_f64 v[104:105], v[191:192], s[18:19], -v[104:105]
	s_delay_alu instid0(VALU_DEP_4) | instskip(SKIP_1) | instid1(VALU_DEP_4)
	v_fma_f64 v[102:103], v[137:138], s[30:31], v[220:221]
	v_fma_f64 v[222:223], v[137:138], s[40:41], v[220:221]
	v_add_f64_e32 v[96:97], v[88:89], v[96:97]
	s_delay_alu instid0(VALU_DEP_4) | instskip(NEXT) | instid1(VALU_DEP_4)
	v_add_f64_e32 v[104:105], v[88:89], v[104:105]
	v_add_f64_e32 v[102:103], v[102:103], v[98:99]
	v_fma_f64 v[98:99], v[155:156], s[16:17], v[106:107]
	v_fma_f64 v[106:107], v[155:156], s[16:17], -v[106:107]
	v_add_f64_e32 v[94:95], v[222:223], v[94:95]
	s_delay_alu instid0(VALU_DEP_3) | instskip(SKIP_1) | instid1(VALU_DEP_4)
	v_add_f64_e32 v[96:97], v[98:99], v[96:97]
	v_fma_f64 v[98:99], v[216:217], s[42:43], v[108:109]
	v_add_f64_e32 v[104:105], v[106:107], v[104:105]
	v_fma_f64 v[106:107], v[216:217], s[26:27], v[108:109]
	v_fma_f64 v[108:109], v[210:211], s[40:41], v[110:111]
	s_delay_alu instid0(VALU_DEP_4) | instskip(NEXT) | instid1(VALU_DEP_3)
	v_add_f64_e32 v[98:99], v[90:91], v[98:99]
	v_add_f64_e32 v[106:107], v[90:91], v[106:107]
	s_delay_alu instid0(VALU_DEP_2) | instskip(SKIP_1) | instid1(VALU_DEP_3)
	v_add_f64_e32 v[98:99], v[112:113], v[98:99]
	v_mul_f64_e32 v[112:113], s[38:39], v[208:209]
	v_add_f64_e32 v[106:107], v[108:109], v[106:107]
	s_delay_alu instid0(VALU_DEP_2) | instskip(SKIP_3) | instid1(VALU_DEP_4)
	v_fma_f64 v[114:115], v[141:142], s[2:3], v[112:113]
	v_fma_f64 v[108:109], v[141:142], s[2:3], -v[112:113]
	v_mul_f64_e32 v[112:113], s[30:31], v[214:215]
	v_mul_f64_e32 v[214:215], s[34:35], v[214:215]
	v_add_f64_e32 v[96:97], v[114:115], v[96:97]
	v_mul_f64_e32 v[114:115], s[2:3], v[143:144]
	v_add_f64_e32 v[104:105], v[108:109], v[104:105]
	s_delay_alu instid0(VALU_DEP_2) | instskip(SKIP_3) | instid1(VALU_DEP_4)
	v_fma_f64 v[218:219], v[206:207], s[28:29], v[114:115]
	v_fma_f64 v[108:109], v[206:207], s[38:39], v[114:115]
	v_mul_f64_e32 v[114:115], s[36:37], v[212:213]
	v_mul_f64_e32 v[212:213], s[38:39], v[212:213]
	v_add_f64_e32 v[98:99], v[218:219], v[98:99]
	v_mul_f64_e32 v[218:219], s[24:25], v[118:119]
	v_add_f64_e32 v[106:107], v[108:109], v[106:107]
	s_delay_alu instid0(VALU_DEP_2) | instskip(SKIP_2) | instid1(VALU_DEP_3)
	v_fma_f64 v[220:221], v[133:134], s[10:11], v[218:219]
	v_fma_f64 v[108:109], v[133:134], s[10:11], -v[218:219]
	v_mul_f64_e32 v[218:219], s[16:17], v[193:194]
	v_add_f64_e32 v[96:97], v[220:221], v[96:97]
	v_mul_f64_e32 v[220:221], s[10:11], v[135:136]
	s_delay_alu instid0(VALU_DEP_4) | instskip(NEXT) | instid1(VALU_DEP_2)
	v_add_f64_e32 v[104:105], v[108:109], v[104:105]
	v_fma_f64 v[222:223], v[122:123], s[36:37], v[220:221]
	v_fma_f64 v[108:109], v[122:123], s[24:25], v[220:221]
	v_mul_f64_e32 v[220:221], s[10:11], v[157:158]
	s_delay_alu instid0(VALU_DEP_3) | instskip(SKIP_1) | instid1(VALU_DEP_4)
	v_add_f64_e32 v[98:99], v[222:223], v[98:99]
	v_mul_f64_e32 v[222:223], s[46:47], v[116:117]
	v_add_f64_e32 v[106:107], v[108:109], v[106:107]
	s_delay_alu instid0(VALU_DEP_2) | instskip(SKIP_2) | instid1(VALU_DEP_3)
	v_fma_f64 v[224:225], v[124:125], s[14:15], v[222:223]
	v_fma_f64 v[108:109], v[124:125], s[14:15], -v[222:223]
	v_fma_f64 v[222:223], v[210:211], s[24:25], v[220:221]
	v_add_f64_e32 v[96:97], v[224:225], v[96:97]
	v_mul_f64_e32 v[224:225], s[14:15], v[126:127]
	s_delay_alu instid0(VALU_DEP_4) | instskip(NEXT) | instid1(VALU_DEP_2)
	v_add_f64_e32 v[104:105], v[108:109], v[104:105]
	v_fma_f64 v[226:227], v[120:121], s[34:35], v[224:225]
	v_fma_f64 v[108:109], v[120:121], s[46:47], v[224:225]
	s_delay_alu instid0(VALU_DEP_2) | instskip(SKIP_1) | instid1(VALU_DEP_3)
	v_add_f64_e32 v[98:99], v[226:227], v[98:99]
	v_mul_f64_e32 v[226:227], s[44:45], v[139:140]
	v_add_f64_e32 v[106:107], v[108:109], v[106:107]
	s_delay_alu instid0(VALU_DEP_2) | instskip(SKIP_1) | instid1(VALU_DEP_2)
	v_fma_f64 v[228:229], v[129:130], s[20:21], v[226:227]
	v_fma_f64 v[108:109], v[129:130], s[20:21], -v[226:227]
	v_add_f64_e32 v[96:97], v[228:229], v[96:97]
	v_mul_f64_e32 v[228:229], s[20:21], v[131:132]
	s_delay_alu instid0(VALU_DEP_3) | instskip(SKIP_2) | instid1(VALU_DEP_4)
	v_add_f64_e32 v[104:105], v[108:109], v[104:105]
	v_fma_f64 v[108:109], v[191:192], s[16:17], v[112:113]
	v_fma_f64 v[112:113], v[191:192], s[16:17], -v[112:113]
	v_fma_f64 v[110:111], v[137:138], s[44:45], v[228:229]
	v_fma_f64 v[230:231], v[137:138], s[22:23], v[228:229]
	s_delay_alu instid0(VALU_DEP_4) | instskip(NEXT) | instid1(VALU_DEP_4)
	v_add_f64_e32 v[108:109], v[88:89], v[108:109]
	v_add_f64_e32 v[112:113], v[88:89], v[112:113]
	s_delay_alu instid0(VALU_DEP_4) | instskip(SKIP_3) | instid1(VALU_DEP_3)
	v_add_f64_e32 v[106:107], v[110:111], v[106:107]
	v_fma_f64 v[110:111], v[155:156], s[10:11], v[114:115]
	v_fma_f64 v[114:115], v[155:156], s[10:11], -v[114:115]
	v_add_f64_e32 v[98:99], v[230:231], v[98:99]
	v_add_f64_e32 v[108:109], v[110:111], v[108:109]
	v_fma_f64 v[110:111], v[216:217], s[40:41], v[218:219]
	s_delay_alu instid0(VALU_DEP_4) | instskip(SKIP_2) | instid1(VALU_DEP_4)
	v_add_f64_e32 v[112:113], v[114:115], v[112:113]
	v_fma_f64 v[114:115], v[216:217], s[30:31], v[218:219]
	v_fma_f64 v[218:219], v[210:211], s[36:37], v[220:221]
	v_add_f64_e32 v[110:111], v[90:91], v[110:111]
	s_delay_alu instid0(VALU_DEP_3) | instskip(NEXT) | instid1(VALU_DEP_2)
	v_add_f64_e32 v[114:115], v[90:91], v[114:115]
	v_add_f64_e32 v[110:111], v[222:223], v[110:111]
	v_mul_f64_e32 v[222:223], s[22:23], v[208:209]
	s_delay_alu instid0(VALU_DEP_3) | instskip(SKIP_1) | instid1(VALU_DEP_3)
	v_add_f64_e32 v[114:115], v[218:219], v[114:115]
	v_mul_f64_e32 v[208:209], s[30:31], v[208:209]
	v_fma_f64 v[224:225], v[141:142], s[20:21], v[222:223]
	v_fma_f64 v[218:219], v[141:142], s[20:21], -v[222:223]
	s_delay_alu instid0(VALU_DEP_2) | instskip(SKIP_1) | instid1(VALU_DEP_3)
	v_add_f64_e32 v[108:109], v[224:225], v[108:109]
	v_mul_f64_e32 v[224:225], s[20:21], v[143:144]
	v_add_f64_e32 v[112:113], v[218:219], v[112:113]
	s_delay_alu instid0(VALU_DEP_2) | instskip(SKIP_2) | instid1(VALU_DEP_3)
	v_fma_f64 v[226:227], v[206:207], s[44:45], v[224:225]
	v_fma_f64 v[218:219], v[206:207], s[22:23], v[224:225]
	v_mul_f64_e32 v[224:225], s[2:3], v[157:158]
	v_add_f64_e32 v[110:111], v[226:227], v[110:111]
	v_mul_f64_e32 v[226:227], s[46:47], v[118:119]
	s_delay_alu instid0(VALU_DEP_4) | instskip(NEXT) | instid1(VALU_DEP_2)
	v_add_f64_e32 v[114:115], v[218:219], v[114:115]
	v_fma_f64 v[228:229], v[133:134], s[14:15], v[226:227]
	v_fma_f64 v[218:219], v[133:134], s[14:15], -v[226:227]
	v_fma_f64 v[226:227], v[210:211], s[28:29], v[224:225]
	v_fma_f64 v[210:211], v[210:211], s[38:39], v[224:225]
	s_delay_alu instid0(VALU_DEP_4) | instskip(SKIP_2) | instid1(VALU_DEP_2)
	v_add_f64_e32 v[108:109], v[228:229], v[108:109]
	v_mul_f64_e32 v[228:229], s[14:15], v[135:136]
	v_add_f64_e32 v[112:113], v[218:219], v[112:113]
	v_fma_f64 v[230:231], v[122:123], s[34:35], v[228:229]
	v_fma_f64 v[218:219], v[122:123], s[46:47], v[228:229]
	s_delay_alu instid0(VALU_DEP_2) | instskip(SKIP_1) | instid1(VALU_DEP_3)
	v_add_f64_e32 v[110:111], v[230:231], v[110:111]
	v_mul_f64_e32 v[230:231], s[38:39], v[116:117]
	v_add_f64_e32 v[114:115], v[218:219], v[114:115]
	s_delay_alu instid0(VALU_DEP_2) | instskip(SKIP_1) | instid1(VALU_DEP_2)
	v_fma_f64 v[232:233], v[124:125], s[2:3], v[230:231]
	v_fma_f64 v[218:219], v[124:125], s[2:3], -v[230:231]
	v_add_f64_e32 v[108:109], v[232:233], v[108:109]
	v_mul_f64_e32 v[232:233], s[2:3], v[126:127]
	s_delay_alu instid0(VALU_DEP_3) | instskip(NEXT) | instid1(VALU_DEP_2)
	v_add_f64_e32 v[112:113], v[218:219], v[112:113]
	v_fma_f64 v[234:235], v[120:121], s[28:29], v[232:233]
	v_fma_f64 v[218:219], v[120:121], s[38:39], v[232:233]
	v_mul_f64_e32 v[232:233], s[18:19], v[126:127]
	s_delay_alu instid0(VALU_DEP_3) | instskip(SKIP_1) | instid1(VALU_DEP_4)
	v_add_f64_e32 v[110:111], v[234:235], v[110:111]
	v_mul_f64_e32 v[234:235], s[26:27], v[139:140]
	v_add_f64_e32 v[114:115], v[218:219], v[114:115]
	v_mul_f64_e32 v[139:140], s[36:37], v[139:140]
	s_delay_alu instid0(VALU_DEP_3) | instskip(SKIP_1) | instid1(VALU_DEP_2)
	v_fma_f64 v[236:237], v[129:130], s[18:19], v[234:235]
	v_fma_f64 v[218:219], v[129:130], s[18:19], -v[234:235]
	v_add_f64_e32 v[108:109], v[236:237], v[108:109]
	v_mul_f64_e32 v[236:237], s[18:19], v[131:132]
	s_delay_alu instid0(VALU_DEP_3) | instskip(SKIP_2) | instid1(VALU_DEP_4)
	v_add_f64_e32 v[112:113], v[218:219], v[112:113]
	v_fma_f64 v[218:219], v[191:192], s[14:15], v[214:215]
	v_fma_f64 v[214:215], v[191:192], s[14:15], -v[214:215]
	v_fma_f64 v[220:221], v[137:138], s[26:27], v[236:237]
	v_fma_f64 v[238:239], v[137:138], s[42:43], v[236:237]
	s_delay_alu instid0(VALU_DEP_4) | instskip(NEXT) | instid1(VALU_DEP_4)
	v_add_f64_e32 v[218:219], v[88:89], v[218:219]
	v_add_f64_e32 v[214:215], v[88:89], v[214:215]
	s_delay_alu instid0(VALU_DEP_4) | instskip(SKIP_3) | instid1(VALU_DEP_3)
	v_add_f64_e32 v[114:115], v[220:221], v[114:115]
	v_fma_f64 v[220:221], v[155:156], s[2:3], v[212:213]
	v_fma_f64 v[212:213], v[155:156], s[2:3], -v[212:213]
	v_add_f64_e32 v[110:111], v[238:239], v[110:111]
	v_add_f64_e32 v[218:219], v[220:221], v[218:219]
	v_mul_f64_e32 v[220:221], s[14:15], v[193:194]
	s_delay_alu instid0(VALU_DEP_4) | instskip(NEXT) | instid1(VALU_DEP_2)
	v_add_f64_e32 v[212:213], v[212:213], v[214:215]
	v_fma_f64 v[222:223], v[216:217], s[46:47], v[220:221]
	v_fma_f64 v[216:217], v[216:217], s[34:35], v[220:221]
	s_delay_alu instid0(VALU_DEP_2) | instskip(NEXT) | instid1(VALU_DEP_2)
	v_add_f64_e32 v[222:223], v[90:91], v[222:223]
	v_add_f64_e32 v[214:215], v[90:91], v[216:217]
	s_delay_alu instid0(VALU_DEP_2) | instskip(SKIP_1) | instid1(VALU_DEP_3)
	v_add_f64_e32 v[222:223], v[226:227], v[222:223]
	v_fma_f64 v[226:227], v[141:142], s[16:17], v[208:209]
	v_add_f64_e32 v[210:211], v[210:211], v[214:215]
	v_fma_f64 v[208:209], v[141:142], s[16:17], -v[208:209]
	s_delay_alu instid0(VALU_DEP_3) | instskip(SKIP_1) | instid1(VALU_DEP_3)
	v_add_f64_e32 v[218:219], v[226:227], v[218:219]
	v_mul_f64_e32 v[226:227], s[16:17], v[143:144]
	v_add_f64_e32 v[208:209], v[208:209], v[212:213]
	s_delay_alu instid0(VALU_DEP_2) | instskip(SKIP_1) | instid1(VALU_DEP_2)
	v_fma_f64 v[228:229], v[206:207], s[40:41], v[226:227]
	v_fma_f64 v[206:207], v[206:207], s[30:31], v[226:227]
	v_add_f64_e32 v[222:223], v[228:229], v[222:223]
	v_mul_f64_e32 v[228:229], s[44:45], v[118:119]
	s_delay_alu instid0(VALU_DEP_3) | instskip(NEXT) | instid1(VALU_DEP_2)
	v_add_f64_e32 v[206:207], v[206:207], v[210:211]
	v_fma_f64 v[118:119], v[133:134], s[20:21], v[228:229]
	v_fma_f64 v[210:211], v[133:134], s[20:21], -v[228:229]
	s_delay_alu instid0(VALU_DEP_2) | instskip(SKIP_1) | instid1(VALU_DEP_3)
	v_add_f64_e32 v[118:119], v[118:119], v[218:219]
	v_mul_f64_e32 v[218:219], s[20:21], v[135:136]
	v_add_f64_e32 v[208:209], v[210:211], v[208:209]
	s_delay_alu instid0(VALU_DEP_2) | instskip(SKIP_1) | instid1(VALU_DEP_2)
	v_fma_f64 v[230:231], v[122:123], s[22:23], v[218:219]
	v_fma_f64 v[122:123], v[122:123], s[44:45], v[218:219]
	v_add_f64_e32 v[222:223], v[230:231], v[222:223]
	v_mul_f64_e32 v[230:231], s[26:27], v[116:117]
	s_delay_alu instid0(VALU_DEP_3) | instskip(NEXT) | instid1(VALU_DEP_2)
	v_add_f64_e32 v[122:123], v[122:123], v[206:207]
	v_fma_f64 v[116:117], v[124:125], s[18:19], v[230:231]
	v_fma_f64 v[206:207], v[124:125], s[18:19], -v[230:231]
	s_delay_alu instid0(VALU_DEP_2) | instskip(SKIP_2) | instid1(VALU_DEP_4)
	v_add_f64_e32 v[116:117], v[116:117], v[118:119]
	v_fma_f64 v[118:119], v[120:121], s[42:43], v[232:233]
	v_fma_f64 v[120:121], v[120:121], s[26:27], v[232:233]
	v_add_f64_e32 v[206:207], v[206:207], v[208:209]
	s_delay_alu instid0(VALU_DEP_3) | instskip(SKIP_1) | instid1(VALU_DEP_4)
	v_add_f64_e32 v[118:119], v[118:119], v[222:223]
	v_fma_f64 v[222:223], v[129:130], s[10:11], v[139:140]
	v_add_f64_e32 v[122:123], v[120:121], v[122:123]
	v_fma_f64 v[120:121], v[129:130], s[10:11], -v[139:140]
	s_delay_alu instid0(VALU_DEP_3) | instskip(SKIP_1) | instid1(VALU_DEP_3)
	v_add_f64_e32 v[116:117], v[222:223], v[116:117]
	v_mul_f64_e32 v[222:223], s[10:11], v[131:132]
	v_add_f64_e32 v[120:121], v[120:121], v[206:207]
	s_delay_alu instid0(VALU_DEP_2) | instskip(SKIP_1) | instid1(VALU_DEP_2)
	v_fma_f64 v[234:235], v[137:138], s[24:25], v[222:223]
	v_fma_f64 v[137:138], v[137:138], s[36:37], v[222:223]
	v_add_f64_e32 v[118:119], v[234:235], v[118:119]
	s_delay_alu instid0(VALU_DEP_2)
	v_add_f64_e32 v[122:123], v[137:138], v[122:123]
	s_and_saveexec_b32 s1, vcc_lo
	s_cbranch_execz .LBB0_17
; %bb.16:
	v_mul_f64_e32 v[137:138], s[20:21], v[193:194]
	v_mul_f64_e32 v[139:140], s[20:21], v[191:192]
	;; [unrolled: 1-line block ×8, first 2 shown]
	v_add_f64_e32 v[137:138], v[199:200], v[137:138]
	v_add_f64_e64 v[139:140], v[139:140], -v[197:198]
	v_add_f64_e32 v[171:172], v[171:172], v[193:194]
	v_add_f64_e64 v[167:168], v[191:192], -v[167:168]
	v_mul_f64_e32 v[191:192], s[10:11], v[141:142]
	v_mul_f64_e32 v[193:194], s[10:11], v[143:144]
	;; [unrolled: 1-line block ×4, first 2 shown]
	v_add_f64_e32 v[195:196], v[195:196], v[206:207]
	v_add_f64_e64 v[187:188], v[208:209], -v[187:188]
	v_add_f64_e32 v[157:158], v[169:170], v[157:158]
	v_add_f64_e64 v[155:156], v[155:156], -v[163:164]
	v_mul_f64_e32 v[163:164], s[18:19], v[133:134]
	v_mul_f64_e32 v[133:134], s[16:17], v[133:134]
	v_add_f64_e32 v[137:138], v[90:91], v[137:138]
	v_add_f64_e32 v[139:140], v[88:89], v[139:140]
	;; [unrolled: 1-line block ×4, first 2 shown]
	v_mul_f64_e32 v[167:168], s[18:19], v[135:136]
	v_mul_f64_e32 v[135:136], s[16:17], v[135:136]
	v_add_f64_e64 v[141:142], v[141:142], -v[183:184]
	v_add_f64_e32 v[143:144], v[189:190], v[143:144]
	v_add_f64_e32 v[165:166], v[165:166], v[193:194]
	v_add_f64_e64 v[159:160], v[191:192], -v[159:160]
	v_add_f64_e64 v[149:150], v[163:164], -v[149:150]
	;; [unrolled: 1-line block ×3, first 2 shown]
	v_add_f64_e32 v[137:138], v[195:196], v[137:138]
	v_add_f64_e32 v[139:140], v[187:188], v[139:140]
	;; [unrolled: 1-line block ×4, first 2 shown]
	v_mul_f64_e32 v[155:156], s[16:17], v[124:125]
	v_mul_f64_e32 v[157:158], s[16:17], v[126:127]
	;; [unrolled: 1-line block ×4, first 2 shown]
	v_add_f64_e32 v[135:136], v[185:186], v[135:136]
	v_add_f64_e32 v[161:162], v[161:162], v[167:168]
	;; [unrolled: 1-line block ×6, first 2 shown]
	v_mul_f64_e32 v[141:142], s[14:15], v[129:130]
	v_mul_f64_e32 v[143:144], s[14:15], v[131:132]
	;; [unrolled: 1-line block ×4, first 2 shown]
	v_add_f64_e32 v[126:127], v[179:180], v[126:127]
	v_add_f64_e64 v[124:125], v[124:125], -v[173:174]
	v_add_f64_e32 v[151:152], v[151:152], v[157:158]
	v_add_f64_e64 v[145:146], v[155:156], -v[145:146]
	v_add_f64_e32 v[135:136], v[135:136], v[137:138]
	v_add_f64_e32 v[133:134], v[133:134], v[139:140]
	;; [unrolled: 1-line block ×4, first 2 shown]
	v_add_f64_e64 v[139:140], v[141:142], -v[147:148]
	v_add_f64_e32 v[137:138], v[153:154], v[143:144]
	v_add_f64_e64 v[129:130], v[129:130], -v[175:176]
	v_add_f64_e32 v[131:132], v[181:182], v[131:132]
	v_add_f64_e32 v[126:127], v[126:127], v[135:136]
	;; [unrolled: 1-line block ×5, first 2 shown]
	s_delay_alu instid0(VALU_DEP_4) | instskip(NEXT) | instid1(VALU_DEP_4)
	v_add_f64_e32 v[90:91], v[131:132], v[126:127]
	v_add_f64_e32 v[88:89], v[129:130], v[124:125]
	s_delay_alu instid0(VALU_DEP_4) | instskip(NEXT) | instid1(VALU_DEP_4)
	v_add_f64_e32 v[126:127], v[137:138], v[133:134]
	v_add_f64_e32 v[124:125], v[139:140], v[135:136]
	v_and_b32_e32 v129, 0xffff, v205
	s_delay_alu instid0(VALU_DEP_1)
	v_lshlrev_b32_e32 v129, 4, v129
	ds_store_b128 v129, v[76:79]
	ds_store_b128 v129, v[80:83] offset:16
	ds_store_b128 v129, v[84:87] offset:32
	ds_store_b128 v129, v[92:95] offset:48
	ds_store_b128 v129, v[96:99] offset:64
	ds_store_b128 v129, v[108:111] offset:80
	ds_store_b128 v129, v[116:119] offset:96
	ds_store_b128 v129, v[120:123] offset:112
	ds_store_b128 v129, v[112:115] offset:128
	ds_store_b128 v129, v[104:107] offset:144
	ds_store_b128 v129, v[100:103] offset:160
	ds_store_b128 v129, v[88:91] offset:176
	ds_store_b128 v129, v[124:127] offset:192
.LBB0_17:
	s_wait_alu 0xfffe
	s_or_b32 exec_lo, exec_lo, s1
	global_wb scope:SCOPE_SE
	s_wait_dscnt 0x0
	s_barrier_signal -1
	s_barrier_wait -1
	global_inv scope:SCOPE_SE
	s_and_saveexec_b32 s1, s0
	s_cbranch_execz .LBB0_19
; %bb.18:
	ds_load_b128 v[76:79], v201
	ds_load_b128 v[80:83], v201 offset:2080
	ds_load_b128 v[84:87], v201 offset:4160
	ds_load_b128 v[92:95], v201 offset:6240
	ds_load_b128 v[96:99], v201 offset:8320
	ds_load_b128 v[108:111], v201 offset:10400
	ds_load_b128 v[116:119], v201 offset:12480
	ds_load_b128 v[120:123], v201 offset:14560
	ds_load_b128 v[112:115], v201 offset:16640
	ds_load_b128 v[104:107], v201 offset:18720
	ds_load_b128 v[100:103], v201 offset:20800
.LBB0_19:
	s_wait_alu 0xfffe
	s_or_b32 exec_lo, exec_lo, s1
	global_wb scope:SCOPE_SE
	s_wait_dscnt 0x0
	s_barrier_signal -1
	s_barrier_wait -1
	global_inv scope:SCOPE_SE
	s_and_saveexec_b32 s18, s0
	s_cbranch_execz .LBB0_21
; %bb.20:
	v_mul_f64_e32 v[88:89], v[2:3], v[80:81]
	v_mul_f64_e32 v[2:3], v[2:3], v[82:83]
	;; [unrolled: 1-line block ×20, first 2 shown]
	s_mov_b32 s24, 0xbb3a28a1
	s_mov_b32 s28, 0xfd768dbf
	s_mov_b32 s25, 0xbfe82f19
	s_mov_b32 s29, 0xbfd207e7
	s_mov_b32 s23, 0x3fed1bb4
	s_mov_b32 s22, 0x8eee2c13
	s_mov_b32 s20, 0x43842ef
	s_mov_b32 s26, 0xf8bb580b
	s_mov_b32 s21, 0xbfefac9e
	s_mov_b32 s27, 0x3fe14ced
	s_mov_b32 s31, 0xbfe14ced
	s_wait_alu 0xfffe
	s_mov_b32 s30, s26
	s_mov_b32 s10, 0x7f775887
	;; [unrolled: 1-line block ×7, first 2 shown]
	v_fma_f64 v[82:83], v[0:1], v[82:83], -v[88:89]
	v_fma_f64 v[80:81], v[0:1], v[80:81], v[2:3]
	v_fma_f64 v[18:19], v[28:29], v[120:121], v[129:130]
	v_fma_f64 v[22:23], v[28:29], v[122:123], -v[30:31]
	v_fma_f64 v[10:11], v[20:21], v[112:113], v[133:134]
	v_fma_f64 v[28:29], v[8:9], v[84:85], v[135:136]
	v_fma_f64 v[6:7], v[12:13], v[104:105], v[137:138]
	v_fma_f64 v[0:1], v[4:5], v[100:101], v[139:140]
	v_fma_f64 v[14:15], v[20:21], v[114:115], -v[143:144]
	v_fma_f64 v[20:21], v[8:9], v[86:87], -v[145:146]
	;; [unrolled: 1-line block ×4, first 2 shown]
	v_fma_f64 v[88:89], v[36:37], v[108:109], v[90:91]
	v_fma_f64 v[90:91], v[32:33], v[116:117], v[124:125]
	v_fma_f64 v[36:37], v[36:37], v[110:111], -v[38:39]
	v_fma_f64 v[32:33], v[32:33], v[118:119], -v[34:35]
	v_fma_f64 v[34:35], v[24:25], v[96:97], v[126:127]
	v_fma_f64 v[24:25], v[24:25], v[98:99], -v[26:27]
	v_fma_f64 v[26:27], v[16:17], v[92:93], v[131:132]
	v_fma_f64 v[16:17], v[16:17], v[94:95], -v[141:142]
	s_mov_b32 s34, s20
	s_mov_b32 s36, s28
	;; [unrolled: 1-line block ×8, first 2 shown]
	v_add_f64_e32 v[4:5], v[78:79], v[82:83]
	v_add_f64_e32 v[12:13], v[76:77], v[80:81]
	v_add_f64_e64 v[86:87], v[28:29], -v[6:7]
	v_add_f64_e64 v[92:93], v[80:81], -v[0:1]
	v_add_f64_e32 v[80:81], v[80:81], v[0:1]
	v_add_f64_e64 v[100:101], v[20:21], -v[8:9]
	v_add_f64_e64 v[102:103], v[82:83], -v[2:3]
	v_add_f64_e32 v[82:83], v[82:83], v[2:3]
	v_add_f64_e64 v[30:31], v[88:89], -v[90:91]
	v_add_f64_e32 v[110:111], v[88:89], v[90:91]
	v_add_f64_e64 v[94:95], v[36:37], -v[32:33]
	v_add_f64_e64 v[38:39], v[34:35], -v[18:19]
	;; [unrolled: 1-line block ×5, first 2 shown]
	v_add_f64_e32 v[114:115], v[26:27], v[10:11]
	v_add_f64_e32 v[106:107], v[24:25], v[22:23]
	;; [unrolled: 1-line block ×9, first 2 shown]
	v_mul_f64_e32 v[122:123], s[26:27], v[86:87]
	v_mul_f64_e32 v[124:125], s[28:29], v[92:93]
	;; [unrolled: 1-line block ×3, first 2 shown]
	s_wait_alu 0xfffe
	v_mul_f64_e32 v[189:190], s[30:31], v[92:93]
	v_mul_f64_e32 v[133:134], s[26:27], v[100:101]
	v_mul_f64_e32 v[151:152], s[24:25], v[102:103]
	v_mul_f64_e32 v[135:136], s[28:29], v[102:103]
	v_mul_f64_e32 v[137:138], s[22:23], v[30:31]
	v_mul_f64_e32 v[171:172], s[20:21], v[102:103]
	v_mul_f64_e32 v[143:144], s[22:23], v[94:95]
	v_mul_f64_e32 v[118:119], s[22:23], v[38:39]
	v_mul_f64_e32 v[129:130], s[22:23], v[96:97]
	v_mul_f64_e32 v[157:158], s[22:23], v[84:85]
	v_mul_f64_e32 v[167:168], s[22:23], v[98:99]
	s_mov_b32 s23, 0xbfed1bb4
	v_mul_f64_e32 v[149:150], s[34:35], v[100:101]
	s_wait_alu 0xfffe
	v_mul_f64_e32 v[191:192], s[22:23], v[102:103]
	v_mul_f64_e32 v[102:103], s[30:31], v[102:103]
	;; [unrolled: 1-line block ×16, first 2 shown]
	v_add_f64_e32 v[4:5], v[4:5], v[16:17]
	v_add_f64_e32 v[12:13], v[12:13], v[26:27]
	v_mul_f64_e32 v[26:27], s[24:25], v[92:93]
	v_mul_f64_e32 v[92:93], s[22:23], v[92:93]
	v_mul_f64_e32 v[16:17], s[34:35], v[86:87]
	v_mul_f64_e32 v[155:156], s[30:31], v[38:39]
	v_fma_f64 v[195:196], v[20:21], s[14:15], v[122:123]
	v_fma_f64 v[197:198], v[82:83], s[2:3], v[124:125]
	v_fma_f64 v[124:125], v[82:83], s[2:3], -v[124:125]
	v_fma_f64 v[217:218], v[82:83], s[16:17], v[161:162]
	v_fma_f64 v[161:162], v[82:83], s[16:17], -v[161:162]
	v_fma_f64 v[215:216], v[80:81], s[10:11], -v[151:152]
	v_fma_f64 v[151:152], v[80:81], s[10:11], v[151:152]
	v_fma_f64 v[211:212], v[80:81], s[2:3], -v[135:136]
	v_fma_f64 v[135:136], v[80:81], s[2:3], v[135:136]
	;; [unrolled: 2-line block ×4, first 2 shown]
	v_fma_f64 v[209:210], v[28:29], s[14:15], -v[133:134]
	v_fma_f64 v[122:123], v[20:21], s[14:15], -v[122:123]
	v_fma_f64 v[133:134], v[28:29], s[14:15], v[133:134]
	v_fma_f64 v[225:226], v[80:81], s[0:1], v[191:192]
	v_mul_f64_e32 v[175:176], s[34:35], v[38:39]
	v_mul_f64_e32 v[183:184], s[34:35], v[96:97]
	v_fma_f64 v[227:228], v[28:29], s[2:3], -v[169:170]
	v_fma_f64 v[169:170], v[28:29], s[2:3], v[169:170]
	v_fma_f64 v[229:230], v[20:21], s[10:11], v[179:180]
	v_fma_f64 v[231:232], v[28:29], s[10:11], -v[187:188]
	v_fma_f64 v[179:180], v[20:21], s[10:11], -v[179:180]
	v_fma_f64 v[187:188], v[28:29], s[10:11], v[187:188]
	v_mul_f64_e32 v[38:39], s[24:25], v[38:39]
	v_fma_f64 v[193:194], v[108:109], s[10:11], v[120:121]
	v_fma_f64 v[207:208], v[114:115], s[10:11], -v[131:132]
	v_fma_f64 v[120:121], v[108:109], s[10:11], -v[120:121]
	v_fma_f64 v[131:132], v[114:115], s[10:11], v[131:132]
	v_fma_f64 v[237:238], v[108:109], s[16:17], v[84:85]
	v_fma_f64 v[239:240], v[114:115], s[16:17], -v[98:99]
	v_add_f64_e32 v[4:5], v[4:5], v[24:25]
	v_add_f64_e32 v[12:13], v[12:13], v[34:35]
	v_mul_f64_e32 v[24:25], s[22:23], v[86:87]
	v_mul_f64_e32 v[34:35], s[22:23], v[100:101]
	v_fma_f64 v[213:214], v[82:83], s[10:11], v[26:27]
	v_fma_f64 v[26:27], v[82:83], s[10:11], -v[26:27]
	v_fma_f64 v[223:224], v[82:83], s[0:1], -v[92:93]
	v_fma_f64 v[82:83], v[82:83], s[0:1], v[92:93]
	v_fma_f64 v[92:93], v[80:81], s[0:1], -v[191:192]
	v_fma_f64 v[191:192], v[20:21], s[2:3], v[159:160]
	v_fma_f64 v[159:160], v[20:21], s[2:3], -v[159:160]
	v_add_f64_e32 v[124:125], v[78:79], v[124:125]
	v_add_f64_e32 v[151:152], v[76:77], v[151:152]
	;; [unrolled: 1-line block ×4, first 2 shown]
	v_fma_f64 v[84:85], v[108:109], s[16:17], -v[84:85]
	v_fma_f64 v[98:99], v[114:115], s[16:17], v[98:99]
	v_add_f64_e32 v[189:190], v[78:79], v[189:190]
	v_add_f64_e32 v[171:172], v[76:77], v[171:172]
	v_mul_f64_e32 v[165:166], s[30:31], v[96:97]
	v_mul_f64_e32 v[96:97], s[24:25], v[96:97]
	v_mul_f64_e32 v[116:117], s[20:21], v[30:31]
	v_mul_f64_e32 v[126:127], s[20:21], v[94:95]
	v_mul_f64_e32 v[153:154], s[24:25], v[30:31]
	v_mul_f64_e32 v[173:174], s[26:27], v[30:31]
	v_mul_f64_e32 v[30:31], s[28:29], v[30:31]
	v_fma_f64 v[100:101], v[106:107], s[0:1], v[118:119]
	v_fma_f64 v[205:206], v[112:113], s[0:1], -v[129:130]
	v_fma_f64 v[118:119], v[106:107], s[0:1], -v[118:119]
	v_fma_f64 v[129:130], v[112:113], s[0:1], v[129:130]
	v_mul_f64_e32 v[181:182], s[26:27], v[94:95]
	v_mul_f64_e32 v[163:164], s[24:25], v[94:95]
	;; [unrolled: 1-line block ×3, first 2 shown]
	v_add_f64_e32 v[4:5], v[4:5], v[36:37]
	v_add_f64_e32 v[12:13], v[12:13], v[88:89]
	v_fma_f64 v[36:37], v[80:81], s[14:15], v[102:103]
	v_fma_f64 v[80:81], v[80:81], s[14:15], -v[102:103]
	v_fma_f64 v[88:89], v[20:21], s[16:17], v[16:17]
	v_fma_f64 v[102:103], v[28:29], s[16:17], -v[149:150]
	v_fma_f64 v[16:17], v[20:21], s[16:17], -v[16:17]
	v_fma_f64 v[149:150], v[28:29], s[16:17], v[149:150]
	v_fma_f64 v[233:234], v[20:21], s[0:1], v[24:25]
	v_fma_f64 v[235:236], v[28:29], s[0:1], -v[34:35]
	v_fma_f64 v[20:21], v[20:21], s[0:1], -v[24:25]
	v_fma_f64 v[24:25], v[28:29], s[0:1], v[34:35]
	v_add_f64_e32 v[28:29], v[78:79], v[197:198]
	v_add_f64_e32 v[197:198], v[78:79], v[213:214]
	;; [unrolled: 1-line block ×12, first 2 shown]
	v_fma_f64 v[92:93], v[114:115], s[14:15], v[147:148]
	v_fma_f64 v[223:224], v[108:109], s[2:3], v[177:178]
	v_fma_f64 v[225:226], v[114:115], s[2:3], -v[185:186]
	v_fma_f64 v[177:178], v[108:109], s[2:3], -v[177:178]
	v_fma_f64 v[185:186], v[114:115], s[2:3], v[185:186]
	v_fma_f64 v[86:87], v[104:105], s[16:17], v[116:117]
	v_fma_f64 v[199:200], v[110:111], s[16:17], -v[126:127]
	v_fma_f64 v[116:117], v[104:105], s[16:17], -v[116:117]
	v_fma_f64 v[126:127], v[110:111], s[16:17], v[126:127]
	v_add_f64_e32 v[4:5], v[4:5], v[32:33]
	v_add_f64_e32 v[12:13], v[12:13], v[90:91]
	;; [unrolled: 1-line block ×4, first 2 shown]
	v_fma_f64 v[76:77], v[108:109], s[14:15], v[141:142]
	v_fma_f64 v[90:91], v[108:109], s[14:15], -v[141:142]
	v_fma_f64 v[80:81], v[114:115], s[14:15], -v[147:148]
	v_fma_f64 v[141:142], v[108:109], s[0:1], v[157:158]
	v_fma_f64 v[147:148], v[114:115], s[0:1], -v[167:168]
	v_fma_f64 v[157:158], v[108:109], s[0:1], -v[157:158]
	v_fma_f64 v[167:168], v[114:115], s[0:1], v[167:168]
	v_add_f64_e32 v[108:109], v[122:123], v[124:125]
	v_add_f64_e32 v[28:29], v[195:196], v[28:29]
	;; [unrolled: 1-line block ×18, first 2 shown]
	v_fma_f64 v[169:170], v[106:107], s[16:17], v[175:176]
	v_fma_f64 v[171:172], v[112:113], s[16:17], -v[183:184]
	v_fma_f64 v[175:176], v[106:107], s[16:17], -v[175:176]
	v_fma_f64 v[179:180], v[112:113], s[16:17], v[183:184]
	v_fma_f64 v[183:184], v[106:107], s[10:11], v[38:39]
	v_fma_f64 v[38:39], v[106:107], s[10:11], -v[38:39]
	v_fma_f64 v[161:162], v[112:113], s[14:15], -v[165:166]
	v_fma_f64 v[165:166], v[112:113], s[14:15], v[165:166]
	v_fma_f64 v[187:188], v[112:113], s[10:11], -v[96:97]
	v_add_f64_e32 v[4:5], v[4:5], v[22:23]
	v_add_f64_e32 v[12:13], v[12:13], v[18:19]
	;; [unrolled: 1-line block ×4, first 2 shown]
	v_fma_f64 v[24:25], v[106:107], s[2:3], v[139:140]
	v_fma_f64 v[36:37], v[106:107], s[2:3], -v[139:140]
	v_fma_f64 v[139:140], v[112:113], s[2:3], v[145:146]
	v_fma_f64 v[32:33], v[112:113], s[2:3], -v[145:146]
	;; [unrolled: 2-line block ×3, first 2 shown]
	v_fma_f64 v[96:97], v[112:113], s[10:11], v[96:97]
	v_add_f64_e32 v[106:107], v[120:121], v[108:109]
	v_add_f64_e32 v[28:29], v[193:194], v[28:29]
	;; [unrolled: 1-line block ×18, first 2 shown]
	v_fma_f64 v[120:121], v[110:111], s[0:1], v[143:144]
	v_fma_f64 v[122:123], v[104:105], s[10:11], v[153:154]
	v_fma_f64 v[131:132], v[104:105], s[10:11], -v[153:154]
	v_fma_f64 v[135:136], v[104:105], s[14:15], v[173:174]
	v_fma_f64 v[141:142], v[104:105], s[14:15], -v[173:174]
	v_fma_f64 v[147:148], v[104:105], s[2:3], v[30:31]
	v_fma_f64 v[133:134], v[110:111], s[10:11], v[163:164]
	v_fma_f64 v[124:125], v[110:111], s[10:11], -v[163:164]
	v_fma_f64 v[149:150], v[110:111], s[2:3], -v[94:95]
	v_add_f64_e32 v[4:5], v[4:5], v[14:15]
	v_add_f64_e32 v[10:11], v[12:13], v[10:11]
	v_add_f64_e32 v[12:13], v[98:99], v[18:19]
	v_add_f64_e32 v[14:15], v[239:240], v[22:23]
	v_fma_f64 v[18:19], v[104:105], s[0:1], v[137:138]
	v_fma_f64 v[98:99], v[104:105], s[0:1], -v[137:138]
	v_fma_f64 v[104:105], v[104:105], s[2:3], -v[30:31]
	;; [unrolled: 1-line block ×3, first 2 shown]
	v_fma_f64 v[143:144], v[110:111], s[14:15], v[181:182]
	v_fma_f64 v[137:138], v[110:111], s[14:15], -v[181:182]
	v_fma_f64 v[94:95], v[110:111], s[2:3], v[94:95]
	v_add_f64_e32 v[28:29], v[100:101], v[28:29]
	v_add_f64_e32 v[24:25], v[24:25], v[76:77]
	;; [unrolled: 1-line block ×40, first 2 shown]
	v_mul_u32_u24_e32 v80, 0x8f, v204
	s_delay_alu instid0(VALU_DEP_1)
	v_add_lshl_u32 v80, v80, v203, 4
	v_add_f64_e32 v[2:3], v[102:103], v[2:3]
	v_add_f64_e32 v[0:1], v[106:107], v[0:1]
	;; [unrolled: 1-line block ×4, first 2 shown]
	ds_store_b128 v80, v[16:19] offset:832
	ds_store_b128 v80, v[8:11] offset:1040
	;; [unrolled: 1-line block ×8, first 2 shown]
	ds_store_b128 v80, v[0:3]
	ds_store_b128 v80, v[32:35] offset:208
	ds_store_b128 v80, v[28:31] offset:2080
.LBB0_21:
	s_wait_alu 0xfffe
	s_or_b32 exec_lo, exec_lo, s18
	global_wb scope:SCOPE_SE
	s_wait_dscnt 0x0
	s_barrier_signal -1
	s_barrier_wait -1
	global_inv scope:SCOPE_SE
	ds_load_b128 v[0:3], v201 offset:6864
	ds_load_b128 v[4:7], v201 offset:11440
	;; [unrolled: 1-line block ×6, first 2 shown]
	s_mov_b32 s10, 0x134454ff
	s_mov_b32 s11, 0xbfee6f0e
	;; [unrolled: 1-line block ×3, first 2 shown]
	s_wait_alu 0xfffe
	s_mov_b32 s0, s10
	s_mov_b32 s16, 0x4755a5e
	;; [unrolled: 1-line block ×4, first 2 shown]
	s_wait_alu 0xfffe
	s_mov_b32 s2, s16
	s_mov_b32 s14, 0x372fe950
	;; [unrolled: 1-line block ×6, first 2 shown]
	s_wait_alu 0xfffe
	s_mov_b32 s20, s14
	s_mov_b32 s23, 0xbfe9e377
	s_wait_dscnt 0x5
	v_mul_f64_e32 v[24:25], v[62:63], v[0:1]
	s_wait_dscnt 0x4
	v_mul_f64_e32 v[26:27], v[70:71], v[4:5]
	;; [unrolled: 2-line block ×5, first 2 shown]
	v_mul_f64_e32 v[38:39], v[62:63], v[2:3]
	v_mul_f64_e32 v[62:63], v[70:71], v[6:7]
	;; [unrolled: 1-line block ×5, first 2 shown]
	s_mov_b32 s22, s18
	v_fma_f64 v[74:75], v[60:61], v[2:3], -v[24:25]
	v_fma_f64 v[6:7], v[68:69], v[6:7], -v[26:27]
	;; [unrolled: 1-line block ×4, first 2 shown]
	ds_load_b128 v[24:27], v201 offset:9152
	ds_load_b128 v[28:31], v201 offset:13728
	;; [unrolled: 1-line block ×3, first 2 shown]
	s_wait_dscnt 0x3
	v_mul_f64_e32 v[2:3], v[58:59], v[22:23]
	v_mul_f64_e32 v[58:59], v[58:59], v[20:21]
	v_fma_f64 v[38:39], v[60:61], v[0:1], v[38:39]
	v_fma_f64 v[4:5], v[68:69], v[4:5], v[62:63]
	;; [unrolled: 1-line block ×4, first 2 shown]
	v_fma_f64 v[18:19], v[40:41], v[18:19], -v[36:37]
	v_fma_f64 v[16:17], v[40:41], v[16:17], v[42:43]
	s_wait_dscnt 0x2
	v_mul_f64_e32 v[76:77], v[54:55], v[26:27]
	v_mul_f64_e32 v[54:55], v[54:55], v[24:25]
	s_wait_dscnt 0x1
	v_mul_f64_e32 v[78:79], v[50:51], v[30:31]
	s_wait_dscnt 0x0
	v_mul_f64_e32 v[80:81], v[46:47], v[34:35]
	v_mul_f64_e32 v[50:51], v[50:51], v[28:29]
	;; [unrolled: 1-line block ×3, first 2 shown]
	v_add_f64_e64 v[60:61], v[74:75], -v[6:7]
	v_add_f64_e32 v[0:1], v[6:7], v[10:11]
	v_add_f64_e32 v[36:37], v[74:75], v[14:15]
	v_add_f64_e64 v[62:63], v[14:15], -v[10:11]
	v_fma_f64 v[20:21], v[56:57], v[20:21], v[2:3]
	v_fma_f64 v[22:23], v[56:57], v[22:23], -v[58:59]
	v_add_f64_e64 v[58:59], v[74:75], -v[14:15]
	v_add_f64_e64 v[64:65], v[6:7], -v[74:75]
	v_add_f64_e32 v[40:41], v[4:5], v[8:9]
	v_add_f64_e32 v[42:43], v[38:39], v[12:13]
	v_add_f64_e64 v[66:67], v[10:11], -v[14:15]
	v_add_f64_e64 v[68:69], v[6:7], -v[10:11]
	;; [unrolled: 1-line block ×5, first 2 shown]
	v_fma_f64 v[24:25], v[52:53], v[24:25], v[76:77]
	v_fma_f64 v[26:27], v[52:53], v[26:27], -v[54:55]
	v_fma_f64 v[28:29], v[48:49], v[28:29], v[78:79]
	v_fma_f64 v[32:33], v[44:45], v[32:33], v[80:81]
	v_fma_f64 v[30:31], v[48:49], v[30:31], -v[50:51]
	v_fma_f64 v[34:35], v[44:45], v[34:35], -v[46:47]
	v_add_f64_e64 v[44:45], v[38:39], -v[12:13]
	v_add_f64_e64 v[46:47], v[4:5], -v[8:9]
	v_fma_f64 v[48:49], v[0:1], -0.5, v[18:19]
	v_fma_f64 v[36:37], v[36:37], -0.5, v[18:19]
	ds_load_b128 v[0:3], v201
	v_add_f64_e32 v[18:19], v[18:19], v[74:75]
	v_fma_f64 v[40:41], v[40:41], -0.5, v[16:17]
	v_fma_f64 v[42:43], v[42:43], -0.5, v[16:17]
	v_add_f64_e32 v[16:17], v[16:17], v[38:39]
	v_add_f64_e64 v[38:39], v[4:5], -v[38:39]
	v_add_f64_e64 v[90:91], v[22:23], -v[26:27]
	v_add_f64_e32 v[50:51], v[24:25], v[28:29]
	v_add_f64_e32 v[52:53], v[20:21], v[32:33]
	;; [unrolled: 1-line block ×4, first 2 shown]
	s_wait_dscnt 0x0
	v_add_f64_e32 v[76:77], v[0:1], v[20:21]
	v_add_f64_e32 v[82:83], v[2:3], v[22:23]
	v_add_f64_e64 v[78:79], v[22:23], -v[34:35]
	v_add_f64_e64 v[74:75], v[20:21], -v[32:33]
	;; [unrolled: 1-line block ×6, first 2 shown]
	v_fma_f64 v[70:71], v[44:45], s[0:1], v[48:49]
	v_fma_f64 v[72:73], v[46:47], s[10:11], v[36:37]
	;; [unrolled: 1-line block ×4, first 2 shown]
	v_add_f64_e32 v[6:7], v[18:19], v[6:7]
	v_add_f64_e32 v[4:5], v[16:17], v[4:5]
	;; [unrolled: 1-line block ×4, first 2 shown]
	v_fma_f64 v[50:51], v[50:51], -0.5, v[0:1]
	v_fma_f64 v[0:1], v[52:53], -0.5, v[0:1]
	;; [unrolled: 1-line block ×4, first 2 shown]
	v_add_f64_e32 v[56:57], v[60:61], v[62:63]
	v_add_f64_e32 v[60:61], v[64:65], v[66:67]
	v_fma_f64 v[62:63], v[58:59], s[10:11], v[40:41]
	v_fma_f64 v[40:41], v[58:59], s[0:1], v[40:41]
	;; [unrolled: 1-line block ×4, first 2 shown]
	v_add_f64_e64 v[52:53], v[24:25], -v[28:29]
	v_add_f64_e32 v[26:27], v[82:83], v[26:27]
	v_add_f64_e32 v[22:23], v[22:23], v[94:95]
	v_fma_f64 v[66:67], v[46:47], s[2:3], v[70:71]
	v_fma_f64 v[70:71], v[44:45], s[2:3], v[72:73]
	;; [unrolled: 1-line block ×4, first 2 shown]
	v_add_f64_e64 v[46:47], v[20:21], -v[24:25]
	v_add_f64_e64 v[20:21], v[24:25], -v[20:21]
	v_add_f64_e32 v[24:25], v[76:77], v[24:25]
	v_add_f64_e64 v[48:49], v[32:33], -v[28:29]
	v_add_f64_e64 v[72:73], v[28:29], -v[32:33]
	v_add_f64_e32 v[4:5], v[4:5], v[8:9]
	v_add_f64_e32 v[6:7], v[6:7], v[10:11]
	v_fma_f64 v[18:19], v[78:79], s[10:11], v[50:51]
	v_fma_f64 v[50:51], v[78:79], s[0:1], v[50:51]
	;; [unrolled: 1-line block ×12, first 2 shown]
	v_add_f64_e32 v[26:27], v[26:27], v[30:31]
	v_fma_f64 v[58:59], v[56:57], s[14:15], v[66:67]
	v_fma_f64 v[66:67], v[60:61], s[14:15], v[70:71]
	v_fma_f64 v[36:37], v[60:61], s[14:15], v[36:37]
	v_fma_f64 v[44:45], v[56:57], s[14:15], v[44:45]
	v_add_f64_e32 v[24:25], v[24:25], v[28:29]
	v_add_f64_e32 v[46:47], v[46:47], v[48:49]
	;; [unrolled: 1-line block ×6, first 2 shown]
	v_fma_f64 v[8:9], v[80:81], s[16:17], v[18:19]
	v_fma_f64 v[10:11], v[80:81], s[2:3], v[50:51]
	;; [unrolled: 1-line block ×12, first 2 shown]
	v_add_f64_e32 v[26:27], v[26:27], v[34:35]
	v_mul_f64_e32 v[42:43], s[16:17], v[58:59]
	v_mul_f64_e32 v[58:59], s[18:19], v[58:59]
	;; [unrolled: 1-line block ×5, first 2 shown]
	s_wait_alu 0xfffe
	v_mul_f64_e32 v[36:37], s[20:21], v[36:37]
	v_mul_f64_e32 v[60:61], s[16:17], v[44:45]
	;; [unrolled: 1-line block ×3, first 2 shown]
	v_add_f64_e32 v[24:25], v[24:25], v[32:33]
	v_fma_f64 v[32:33], v[46:47], s[14:15], v[8:9]
	v_fma_f64 v[34:35], v[46:47], s[14:15], v[10:11]
	;; [unrolled: 1-line block ×8, first 2 shown]
	v_add_f64_e32 v[2:3], v[26:27], v[6:7]
	v_add_f64_e64 v[6:7], v[26:27], -v[6:7]
	v_fma_f64 v[28:29], v[52:53], s[18:19], v[42:43]
	v_fma_f64 v[52:53], v[52:53], s[2:3], v[58:59]
	v_fma_f64 v[42:43], v[40:41], s[14:15], v[54:55]
	v_fma_f64 v[40:41], v[40:41], s[0:1], v[62:63]
	v_fma_f64 v[54:55], v[38:39], s[20:21], v[56:57]
	v_fma_f64 v[38:39], v[38:39], s[0:1], v[36:37]
	v_fma_f64 v[56:57], v[16:17], s[22:23], v[60:61]
	v_fma_f64 v[44:45], v[16:17], s[2:3], v[44:45]
	v_add_f64_e32 v[0:1], v[24:25], v[4:5]
	v_add_f64_e64 v[4:5], v[24:25], -v[4:5]
	v_add_f64_e32 v[8:9], v[32:33], v[28:29]
	v_add_f64_e32 v[10:11], v[66:67], v[52:53]
	;; [unrolled: 1-line block ×8, first 2 shown]
	v_add_f64_e64 v[24:25], v[32:33], -v[28:29]
	v_add_f64_e64 v[26:27], v[66:67], -v[52:53]
	;; [unrolled: 1-line block ×8, first 2 shown]
	ds_store_b128 v201, v[0:3]
	ds_store_b128 v201, v[8:11] offset:2288
	ds_store_b128 v201, v[12:15] offset:4576
	;; [unrolled: 1-line block ×9, first 2 shown]
	global_wb scope:SCOPE_SE
	s_wait_dscnt 0x0
	s_barrier_signal -1
	s_barrier_wait -1
	global_inv scope:SCOPE_SE
	s_and_b32 exec_lo, exec_lo, vcc_lo
	s_cbranch_execz .LBB0_23
; %bb.22:
	s_clause 0xb
	global_load_b128 v[0:3], v201, s[8:9]
	global_load_b128 v[4:7], v201, s[8:9] offset:1760
	global_load_b128 v[8:11], v201, s[8:9] offset:3520
	;; [unrolled: 1-line block ×11, first 2 shown]
	v_mad_co_u64_u32 v[88:89], null, s6, v128, 0
	v_mad_co_u64_u32 v[100:101], null, s4, v202, 0
	s_mul_u64 s[0:1], s[4:5], 0x6e0
	s_mov_b32 s2, 0xd118b474
	s_mov_b32 s3, 0x3f46ea28
	s_delay_alu instid0(VALU_DEP_2) | instskip(NEXT) | instid1(VALU_DEP_2)
	v_mov_b32_e32 v48, v89
	v_mov_b32_e32 v64, v101
	s_delay_alu instid0(VALU_DEP_2)
	v_mad_co_u64_u32 v[72:73], null, s7, v128, v[48:49]
	ds_load_b128 v[48:51], v201
	ds_load_b128 v[52:55], v201 offset:1760
	ds_load_b128 v[56:59], v201 offset:3520
	ds_load_b128 v[60:63], v201 offset:5280
	v_mad_co_u64_u32 v[90:91], null, s5, v202, v[64:65]
	ds_load_b128 v[64:67], v201 offset:7040
	ds_load_b128 v[68:71], v201 offset:8800
	v_mov_b32_e32 v89, v72
	ds_load_b128 v[72:75], v201 offset:10560
	ds_load_b128 v[76:79], v201 offset:12320
	;; [unrolled: 1-line block ×4, first 2 shown]
	v_mov_b32_e32 v101, v90
	v_lshlrev_b64_e32 v[102:103], 4, v[88:89]
	ds_load_b128 v[88:91], v201 offset:17600
	ds_load_b128 v[92:95], v201 offset:19360
	;; [unrolled: 1-line block ×3, first 2 shown]
	v_lshlrev_b64_e32 v[100:101], 4, v[100:101]
	v_add_co_u32 v126, vcc_lo, s12, v102
	v_add_co_ci_u32_e32 v127, vcc_lo, s13, v103, vcc_lo
	s_delay_alu instid0(VALU_DEP_2) | instskip(SKIP_1) | instid1(VALU_DEP_2)
	v_add_co_u32 v100, vcc_lo, v126, v100
	s_wait_alu 0xfffd
	v_add_co_ci_u32_e32 v101, vcc_lo, v127, v101, vcc_lo
	s_wait_alu 0xfffe
	s_delay_alu instid0(VALU_DEP_2) | instskip(SKIP_1) | instid1(VALU_DEP_2)
	v_add_co_u32 v126, vcc_lo, v100, s0
	s_wait_alu 0xfffd
	v_add_co_ci_u32_e32 v127, vcc_lo, s1, v101, vcc_lo
	s_delay_alu instid0(VALU_DEP_2) | instskip(SKIP_1) | instid1(VALU_DEP_2)
	v_add_co_u32 v128, vcc_lo, v126, s0
	s_wait_alu 0xfffd
	v_add_co_ci_u32_e32 v129, vcc_lo, s1, v127, vcc_lo
	s_wait_loadcnt_dscnt 0xb0c
	v_mul_f64_e32 v[102:103], v[50:51], v[2:3]
	v_mul_f64_e32 v[2:3], v[48:49], v[2:3]
	s_wait_loadcnt_dscnt 0xa0b
	v_mul_f64_e32 v[104:105], v[54:55], v[6:7]
	v_mul_f64_e32 v[6:7], v[52:53], v[6:7]
	s_wait_loadcnt_dscnt 0x90a
	v_mul_f64_e32 v[106:107], v[58:59], v[10:11]
	v_mul_f64_e32 v[10:11], v[56:57], v[10:11]
	s_wait_loadcnt_dscnt 0x809
	v_mul_f64_e32 v[108:109], v[62:63], v[14:15]
	v_mul_f64_e32 v[14:15], v[60:61], v[14:15]
	s_wait_loadcnt_dscnt 0x708
	v_mul_f64_e32 v[110:111], v[66:67], v[18:19]
	v_mul_f64_e32 v[18:19], v[64:65], v[18:19]
	s_wait_loadcnt_dscnt 0x607
	v_mul_f64_e32 v[112:113], v[70:71], v[22:23]
	v_mul_f64_e32 v[22:23], v[68:69], v[22:23]
	s_wait_loadcnt_dscnt 0x506
	v_mul_f64_e32 v[114:115], v[74:75], v[26:27]
	v_mul_f64_e32 v[26:27], v[72:73], v[26:27]
	s_wait_loadcnt_dscnt 0x405
	v_mul_f64_e32 v[116:117], v[78:79], v[30:31]
	v_mul_f64_e32 v[30:31], v[76:77], v[30:31]
	s_wait_loadcnt_dscnt 0x304
	v_mul_f64_e32 v[118:119], v[82:83], v[34:35]
	v_mul_f64_e32 v[34:35], v[80:81], v[34:35]
	s_wait_loadcnt_dscnt 0x203
	v_mul_f64_e32 v[120:121], v[86:87], v[38:39]
	v_mul_f64_e32 v[38:39], v[84:85], v[38:39]
	s_wait_loadcnt_dscnt 0x102
	v_mul_f64_e32 v[122:123], v[90:91], v[42:43]
	v_mul_f64_e32 v[42:43], v[88:89], v[42:43]
	s_wait_loadcnt_dscnt 0x1
	v_mul_f64_e32 v[124:125], v[94:95], v[46:47]
	v_mul_f64_e32 v[46:47], v[92:93], v[46:47]
	v_fma_f64 v[48:49], v[48:49], v[0:1], v[102:103]
	v_fma_f64 v[2:3], v[0:1], v[50:51], -v[2:3]
	v_fma_f64 v[50:51], v[52:53], v[4:5], v[104:105]
	v_fma_f64 v[6:7], v[4:5], v[54:55], -v[6:7]
	;; [unrolled: 2-line block ×12, first 2 shown]
	v_add_co_u32 v72, vcc_lo, v128, s0
	s_wait_alu 0xfffd
	v_add_co_ci_u32_e32 v73, vcc_lo, s1, v129, vcc_lo
	s_delay_alu instid0(VALU_DEP_2) | instskip(SKIP_1) | instid1(VALU_DEP_2)
	v_add_co_u32 v74, vcc_lo, v72, s0
	s_wait_alu 0xfffd
	v_add_co_ci_u32_e32 v75, vcc_lo, s1, v73, vcc_lo
	s_delay_alu instid0(VALU_DEP_2) | instskip(SKIP_1) | instid1(VALU_DEP_2)
	v_add_co_u32 v76, vcc_lo, v74, s0
	s_wait_alu 0xfffd
	v_add_co_ci_u32_e32 v77, vcc_lo, s1, v75, vcc_lo
	v_mul_f64_e32 v[0:1], s[2:3], v[48:49]
	v_mul_f64_e32 v[2:3], s[2:3], v[2:3]
	;; [unrolled: 1-line block ×24, first 2 shown]
	v_add_co_u32 v48, vcc_lo, v76, s0
	s_wait_alu 0xfffd
	v_add_co_ci_u32_e32 v49, vcc_lo, s1, v77, vcc_lo
	s_delay_alu instid0(VALU_DEP_2) | instskip(SKIP_1) | instid1(VALU_DEP_2)
	v_add_co_u32 v50, vcc_lo, v48, s0
	s_wait_alu 0xfffd
	v_add_co_ci_u32_e32 v51, vcc_lo, s1, v49, vcc_lo
	s_delay_alu instid0(VALU_DEP_2) | instskip(SKIP_1) | instid1(VALU_DEP_2)
	;; [unrolled: 4-line block ×5, first 2 shown]
	v_add_co_u32 v58, vcc_lo, v56, s0
	s_wait_alu 0xfffd
	v_add_co_ci_u32_e32 v59, vcc_lo, s1, v57, vcc_lo
	s_clause 0x4
	global_store_b128 v[100:101], v[0:3], off
	global_store_b128 v[126:127], v[4:7], off
	;; [unrolled: 1-line block ×12, first 2 shown]
	global_load_b128 v[0:3], v201, s[8:9] offset:21120
	s_wait_loadcnt_dscnt 0x0
	v_mul_f64_e32 v[4:5], v[98:99], v[2:3]
	v_mul_f64_e32 v[2:3], v[96:97], v[2:3]
	s_delay_alu instid0(VALU_DEP_2) | instskip(NEXT) | instid1(VALU_DEP_2)
	v_fma_f64 v[4:5], v[96:97], v[0:1], v[4:5]
	v_fma_f64 v[2:3], v[0:1], v[98:99], -v[2:3]
	s_delay_alu instid0(VALU_DEP_2) | instskip(NEXT) | instid1(VALU_DEP_2)
	v_mul_f64_e32 v[0:1], s[2:3], v[4:5]
	v_mul_f64_e32 v[2:3], s[2:3], v[2:3]
	v_add_co_u32 v4, vcc_lo, v58, s0
	s_wait_alu 0xfffd
	v_add_co_ci_u32_e32 v5, vcc_lo, s1, v59, vcc_lo
	global_store_b128 v[4:5], v[0:3], off
.LBB0_23:
	s_nop 0
	s_sendmsg sendmsg(MSG_DEALLOC_VGPRS)
	s_endpgm
	.section	.rodata,"a",@progbits
	.p2align	6, 0x0
	.amdhsa_kernel bluestein_single_back_len1430_dim1_dp_op_CI_CI
		.amdhsa_group_segment_fixed_size 22880
		.amdhsa_private_segment_fixed_size 0
		.amdhsa_kernarg_size 104
		.amdhsa_user_sgpr_count 2
		.amdhsa_user_sgpr_dispatch_ptr 0
		.amdhsa_user_sgpr_queue_ptr 0
		.amdhsa_user_sgpr_kernarg_segment_ptr 1
		.amdhsa_user_sgpr_dispatch_id 0
		.amdhsa_user_sgpr_private_segment_size 0
		.amdhsa_wavefront_size32 1
		.amdhsa_uses_dynamic_stack 0
		.amdhsa_enable_private_segment 0
		.amdhsa_system_sgpr_workgroup_id_x 1
		.amdhsa_system_sgpr_workgroup_id_y 0
		.amdhsa_system_sgpr_workgroup_id_z 0
		.amdhsa_system_sgpr_workgroup_info 0
		.amdhsa_system_vgpr_workitem_id 0
		.amdhsa_next_free_vgpr 253
		.amdhsa_next_free_sgpr 48
		.amdhsa_reserve_vcc 1
		.amdhsa_float_round_mode_32 0
		.amdhsa_float_round_mode_16_64 0
		.amdhsa_float_denorm_mode_32 3
		.amdhsa_float_denorm_mode_16_64 3
		.amdhsa_fp16_overflow 0
		.amdhsa_workgroup_processor_mode 1
		.amdhsa_memory_ordered 1
		.amdhsa_forward_progress 0
		.amdhsa_round_robin_scheduling 0
		.amdhsa_exception_fp_ieee_invalid_op 0
		.amdhsa_exception_fp_denorm_src 0
		.amdhsa_exception_fp_ieee_div_zero 0
		.amdhsa_exception_fp_ieee_overflow 0
		.amdhsa_exception_fp_ieee_underflow 0
		.amdhsa_exception_fp_ieee_inexact 0
		.amdhsa_exception_int_div_zero 0
	.end_amdhsa_kernel
	.text
.Lfunc_end0:
	.size	bluestein_single_back_len1430_dim1_dp_op_CI_CI, .Lfunc_end0-bluestein_single_back_len1430_dim1_dp_op_CI_CI
                                        ; -- End function
	.section	.AMDGPU.csdata,"",@progbits
; Kernel info:
; codeLenInByte = 17808
; NumSgprs: 50
; NumVgprs: 253
; ScratchSize: 0
; MemoryBound: 0
; FloatMode: 240
; IeeeMode: 1
; LDSByteSize: 22880 bytes/workgroup (compile time only)
; SGPRBlocks: 6
; VGPRBlocks: 31
; NumSGPRsForWavesPerEU: 50
; NumVGPRsForWavesPerEU: 253
; Occupancy: 5
; WaveLimiterHint : 1
; COMPUTE_PGM_RSRC2:SCRATCH_EN: 0
; COMPUTE_PGM_RSRC2:USER_SGPR: 2
; COMPUTE_PGM_RSRC2:TRAP_HANDLER: 0
; COMPUTE_PGM_RSRC2:TGID_X_EN: 1
; COMPUTE_PGM_RSRC2:TGID_Y_EN: 0
; COMPUTE_PGM_RSRC2:TGID_Z_EN: 0
; COMPUTE_PGM_RSRC2:TIDIG_COMP_CNT: 0
	.text
	.p2alignl 7, 3214868480
	.fill 96, 4, 3214868480
	.type	__hip_cuid_8a8a19c95386eaf3,@object ; @__hip_cuid_8a8a19c95386eaf3
	.section	.bss,"aw",@nobits
	.globl	__hip_cuid_8a8a19c95386eaf3
__hip_cuid_8a8a19c95386eaf3:
	.byte	0                               ; 0x0
	.size	__hip_cuid_8a8a19c95386eaf3, 1

	.ident	"AMD clang version 19.0.0git (https://github.com/RadeonOpenCompute/llvm-project roc-6.4.0 25133 c7fe45cf4b819c5991fe208aaa96edf142730f1d)"
	.section	".note.GNU-stack","",@progbits
	.addrsig
	.addrsig_sym __hip_cuid_8a8a19c95386eaf3
	.amdgpu_metadata
---
amdhsa.kernels:
  - .args:
      - .actual_access:  read_only
        .address_space:  global
        .offset:         0
        .size:           8
        .value_kind:     global_buffer
      - .actual_access:  read_only
        .address_space:  global
        .offset:         8
        .size:           8
        .value_kind:     global_buffer
      - .actual_access:  read_only
        .address_space:  global
        .offset:         16
        .size:           8
        .value_kind:     global_buffer
      - .actual_access:  read_only
        .address_space:  global
        .offset:         24
        .size:           8
        .value_kind:     global_buffer
      - .actual_access:  read_only
        .address_space:  global
        .offset:         32
        .size:           8
        .value_kind:     global_buffer
      - .offset:         40
        .size:           8
        .value_kind:     by_value
      - .address_space:  global
        .offset:         48
        .size:           8
        .value_kind:     global_buffer
      - .address_space:  global
        .offset:         56
        .size:           8
        .value_kind:     global_buffer
      - .address_space:  global
        .offset:         64
        .size:           8
        .value_kind:     global_buffer
      - .address_space:  global
        .offset:         72
        .size:           8
        .value_kind:     global_buffer
      - .offset:         80
        .size:           4
        .value_kind:     by_value
      - .address_space:  global
        .offset:         88
        .size:           8
        .value_kind:     global_buffer
      - .address_space:  global
        .offset:         96
        .size:           8
        .value_kind:     global_buffer
    .group_segment_fixed_size: 22880
    .kernarg_segment_align: 8
    .kernarg_segment_size: 104
    .language:       OpenCL C
    .language_version:
      - 2
      - 0
    .max_flat_workgroup_size: 143
    .name:           bluestein_single_back_len1430_dim1_dp_op_CI_CI
    .private_segment_fixed_size: 0
    .sgpr_count:     50
    .sgpr_spill_count: 0
    .symbol:         bluestein_single_back_len1430_dim1_dp_op_CI_CI.kd
    .uniform_work_group_size: 1
    .uses_dynamic_stack: false
    .vgpr_count:     253
    .vgpr_spill_count: 0
    .wavefront_size: 32
    .workgroup_processor_mode: 1
amdhsa.target:   amdgcn-amd-amdhsa--gfx1201
amdhsa.version:
  - 1
  - 2
...

	.end_amdgpu_metadata
